;; amdgpu-corpus repo=ROCm/rocFFT kind=compiled arch=gfx1030 opt=O3
	.text
	.amdgcn_target "amdgcn-amd-amdhsa--gfx1030"
	.amdhsa_code_object_version 6
	.protected	bluestein_single_fwd_len585_dim1_sp_op_CI_CI ; -- Begin function bluestein_single_fwd_len585_dim1_sp_op_CI_CI
	.globl	bluestein_single_fwd_len585_dim1_sp_op_CI_CI
	.p2align	8
	.type	bluestein_single_fwd_len585_dim1_sp_op_CI_CI,@function
bluestein_single_fwd_len585_dim1_sp_op_CI_CI: ; @bluestein_single_fwd_len585_dim1_sp_op_CI_CI
; %bb.0:
	s_load_dwordx4 s[0:3], s[4:5], 0x28
	v_mul_u32_u24_e32 v1, 0x3f1, v0
	v_lshrrev_b32_e32 v1, 16, v1
	v_mad_u64_u32 v[64:65], null, s6, 3, v[1:2]
	v_mov_b32_e32 v65, 0
	s_waitcnt lgkmcnt(0)
	v_cmp_gt_u64_e32 vcc_lo, s[0:1], v[64:65]
	s_and_saveexec_b32 s0, vcc_lo
	s_cbranch_execz .LBB0_23
; %bb.1:
	v_mul_hi_u32 v2, 0xaaaaaaab, v64
	s_clause 0x1
	s_load_dwordx2 s[14:15], s[4:5], 0x0
	s_load_dwordx2 s[12:13], s[4:5], 0x38
	v_mul_lo_u16 v1, 0x41, v1
	v_sub_nc_u16 v0, v0, v1
	v_lshrrev_b32_e32 v2, 1, v2
	v_and_b32_e32 v69, 0xffff, v0
	v_lshl_add_u32 v2, v2, 1, v2
	v_cmp_gt_u16_e32 vcc_lo, 45, v0
	v_lshlrev_b32_e32 v70, 3, v69
	v_sub_nc_u32_e32 v1, v64, v2
	v_mul_u32_u24_e32 v42, 0x249, v1
	v_lshlrev_b32_e32 v71, 3, v42
	s_and_saveexec_b32 s1, vcc_lo
	s_cbranch_execz .LBB0_3
; %bb.2:
	s_load_dwordx2 s[6:7], s[4:5], 0x18
	s_waitcnt lgkmcnt(0)
	v_add_co_u32 v20, s0, s14, v70
	v_add_co_ci_u32_e64 v21, null, s15, 0, s0
	v_add_nc_u32_e32 v55, v71, v70
	v_add_co_u32 v18, s0, 0x800, v20
	v_add_co_ci_u32_e64 v19, s0, 0, v21, s0
	v_add_co_u32 v20, s0, 0x1000, v20
	v_add_co_ci_u32_e64 v21, s0, 0, v21, s0
	v_add_nc_u32_e32 v56, 0x400, v55
	s_load_dwordx4 s[8:11], s[6:7], 0x0
	s_waitcnt lgkmcnt(0)
	v_mad_u64_u32 v[0:1], null, s10, v64, 0
	v_mad_u64_u32 v[2:3], null, s8, v69, 0
	s_mul_i32 s6, s9, 0x168
	s_mul_hi_u32 s7, s8, 0x168
	s_add_i32 s7, s7, s6
	v_mad_u64_u32 v[4:5], null, s11, v64, v[1:2]
	s_clause 0x2
	global_load_dwordx2 v[5:6], v70, s[14:15]
	global_load_dwordx2 v[7:8], v70, s[14:15] offset:360
	global_load_dwordx2 v[9:10], v70, s[14:15] offset:720
	v_mad_u64_u32 v[11:12], null, s9, v69, v[3:4]
	v_mov_b32_e32 v1, v4
	s_clause 0x7
	global_load_dwordx2 v[12:13], v70, s[14:15] offset:1080
	global_load_dwordx2 v[14:15], v70, s[14:15] offset:1440
	;; [unrolled: 1-line block ×3, first 2 shown]
	global_load_dwordx2 v[22:23], v[18:19], off offset:112
	global_load_dwordx2 v[24:25], v[18:19], off offset:472
	;; [unrolled: 1-line block ×5, first 2 shown]
	v_lshlrev_b64 v[0:1], 3, v[0:1]
	v_mov_b32_e32 v3, v11
	v_lshl_add_u32 v11, v69, 3, v71
	v_add_co_u32 v0, s0, s2, v0
	v_lshlrev_b64 v[2:3], 3, v[2:3]
	v_add_co_ci_u32_e64 v1, s0, s3, v1, s0
	s_mul_i32 s2, s8, 0x168
	v_add_co_u32 v0, s0, v0, v2
	v_add_co_ci_u32_e64 v1, s0, v1, v3, s0
	v_add_co_u32 v2, s0, v0, s2
	v_add_co_ci_u32_e64 v3, s0, s7, v1, s0
	global_load_dwordx2 v[0:1], v[0:1], off
	v_add_co_u32 v30, s0, v2, s2
	v_add_co_ci_u32_e64 v31, s0, s7, v3, s0
	v_add_co_u32 v34, s0, v30, s2
	v_add_co_ci_u32_e64 v35, s0, s7, v31, s0
	;; [unrolled: 2-line block ×3, first 2 shown]
	s_clause 0x2
	global_load_dwordx2 v[2:3], v[2:3], off
	global_load_dwordx2 v[30:31], v[30:31], off
	;; [unrolled: 1-line block ×3, first 2 shown]
	v_add_co_u32 v38, s0, v36, s2
	v_add_co_ci_u32_e64 v39, s0, s7, v37, s0
	global_load_dwordx2 v[36:37], v[36:37], off
	v_add_co_u32 v40, s0, v38, s2
	v_add_co_ci_u32_e64 v41, s0, s7, v39, s0
	global_load_dwordx2 v[38:39], v[38:39], off
	;; [unrolled: 3-line block ×7, first 2 shown]
	v_add_co_u32 v53, s0, v51, s2
	v_add_co_ci_u32_e64 v54, s0, s7, v52, s0
	global_load_dwordx2 v[18:19], v[18:19], off offset:1912
	global_load_dwordx2 v[51:52], v[51:52], off
	global_load_dwordx2 v[20:21], v[20:21], off offset:224
	global_load_dwordx2 v[53:54], v[53:54], off
	s_waitcnt vmcnt(14)
	v_mul_f32_e32 v4, v1, v6
	v_mul_f32_e32 v57, v0, v6
	v_fmac_f32_e32 v4, v0, v5
	v_fma_f32 v5, v1, v5, -v57
	ds_write_b64 v11, v[4:5]
	s_waitcnt vmcnt(13)
	v_mul_f32_e32 v0, v3, v8
	v_mul_f32_e32 v8, v2, v8
	s_waitcnt vmcnt(12)
	v_mul_f32_e32 v6, v31, v10
	v_mul_f32_e32 v10, v30, v10
	v_fmac_f32_e32 v0, v2, v7
	v_fma_f32 v1, v3, v7, -v8
	v_fmac_f32_e32 v6, v30, v9
	v_fma_f32 v7, v31, v9, -v10
	s_waitcnt vmcnt(11)
	v_mul_f32_e32 v2, v35, v13
	v_mul_f32_e32 v3, v34, v13
	v_add_nc_u32_e32 v30, 0x800, v55
	s_waitcnt vmcnt(9)
	v_mul_f32_e32 v4, v39, v17
	ds_write2_b64 v55, v[0:1], v[6:7] offset0:45 offset1:90
	v_mul_f32_e32 v0, v37, v15
	v_mul_f32_e32 v1, v36, v15
	;; [unrolled: 1-line block ×3, first 2 shown]
	s_waitcnt vmcnt(8)
	v_mul_f32_e32 v6, v41, v23
	v_mul_f32_e32 v7, v40, v23
	v_fmac_f32_e32 v2, v34, v12
	v_fma_f32 v3, v35, v12, -v3
	v_fmac_f32_e32 v0, v36, v14
	s_waitcnt vmcnt(7)
	v_mul_f32_e32 v8, v44, v25
	v_mul_f32_e32 v9, v43, v25
	v_fma_f32 v1, v37, v14, -v1
	v_fmac_f32_e32 v4, v38, v16
	v_fma_f32 v5, v39, v16, -v5
	s_waitcnt vmcnt(6)
	v_mul_f32_e32 v10, v46, v27
	v_mul_f32_e32 v11, v45, v27
	v_fmac_f32_e32 v6, v40, v22
	v_fma_f32 v7, v41, v22, -v7
	v_fmac_f32_e32 v8, v43, v24
	s_waitcnt vmcnt(5)
	v_mul_f32_e32 v12, v48, v29
	v_mul_f32_e32 v13, v47, v29
	v_fma_f32 v9, v44, v24, -v9
	v_fmac_f32_e32 v10, v45, v26
	v_fma_f32 v11, v46, v26, -v11
	s_waitcnt vmcnt(4)
	v_mul_f32_e32 v14, v50, v33
	v_mul_f32_e32 v15, v49, v33
	v_fmac_f32_e32 v12, v47, v28
	s_waitcnt vmcnt(2)
	v_mul_f32_e32 v16, v52, v19
	v_mul_f32_e32 v17, v51, v19
	s_waitcnt vmcnt(0)
	v_mul_f32_e32 v19, v54, v21
	v_mul_f32_e32 v21, v53, v21
	v_fma_f32 v13, v48, v28, -v13
	v_fmac_f32_e32 v14, v49, v32
	v_fma_f32 v15, v50, v32, -v15
	v_fmac_f32_e32 v16, v51, v18
	;; [unrolled: 2-line block ×3, first 2 shown]
	v_fma_f32 v20, v54, v20, -v21
	v_add_nc_u32_e32 v18, 0xc00, v55
	ds_write2_b64 v55, v[2:3], v[0:1] offset0:135 offset1:180
	ds_write2_b64 v56, v[4:5], v[6:7] offset0:97 offset1:142
	;; [unrolled: 1-line block ×5, first 2 shown]
.LBB0_3:
	s_or_b32 exec_lo, exec_lo, s1
	v_mov_b32_e32 v16, 0
	v_mov_b32_e32 v17, 0
	s_waitcnt lgkmcnt(0)
	s_barrier
	buffer_gl0_inv
                                        ; implicit-def: $vgpr10
                                        ; implicit-def: $vgpr4
                                        ; implicit-def: $vgpr12
                                        ; implicit-def: $vgpr28
                                        ; implicit-def: $vgpr22
                                        ; implicit-def: $vgpr26
	s_and_saveexec_b32 s0, vcc_lo
	s_cbranch_execz .LBB0_5
; %bb.4:
	v_lshl_add_u32 v0, v42, 3, v70
	v_add_nc_u32_e32 v1, 0x800, v0
	ds_read2_b64 v[16:19], v0 offset1:45
	ds_read2_b64 v[24:27], v0 offset0:90 offset1:135
	ds_read2_b64 v[20:23], v0 offset0:180 offset1:225
	;; [unrolled: 1-line block ×5, first 2 shown]
	ds_read_b64 v[28:29], v0 offset:4320
.LBB0_5:
	s_or_b32 exec_lo, exec_lo, s0
	s_waitcnt lgkmcnt(0)
	v_sub_f32_e32 v35, v19, v29
	v_sub_f32_e32 v34, v18, v28
	v_add_f32_e32 v53, v28, v18
	v_sub_f32_e32 v37, v25, v15
	v_add_f32_e32 v54, v29, v19
	v_mul_f32_e32 v43, 0xbeedf032, v35
	v_mul_f32_e32 v44, 0xbeedf032, v34
	v_add_f32_e32 v55, v14, v24
	v_sub_f32_e32 v36, v24, v14
	v_mul_f32_e32 v45, 0xbf52af12, v37
	v_fmamk_f32 v0, v53, 0x3f62ad3f, v43
	v_sub_f32_e32 v40, v27, v13
	v_fma_f32 v1, 0x3f62ad3f, v54, -v44
	v_add_f32_e32 v58, v15, v25
	v_mul_f32_e32 v46, 0xbf52af12, v36
	v_add_f32_e32 v0, v0, v16
	v_fmamk_f32 v2, v55, 0x3f116cb1, v45
	v_sub_f32_e32 v41, v26, v12
	v_add_f32_e32 v59, v12, v26
	v_mul_f32_e32 v47, 0xbf7e222b, v40
	v_sub_f32_e32 v74, v21, v7
	v_add_f32_e32 v1, v1, v17
	v_fma_f32 v3, 0x3f116cb1, v58, -v46
	v_add_f32_e32 v0, v2, v0
	v_add_f32_e32 v60, v13, v27
	v_mul_f32_e32 v48, 0xbf7e222b, v41
	v_fmamk_f32 v2, v59, 0x3df6dbef, v47
	v_sub_f32_e32 v108, v20, v6
	v_add_f32_e32 v61, v6, v20
	v_mul_f32_e32 v49, 0xbf6f5d39, v74
	v_sub_f32_e32 v109, v23, v5
	v_add_f32_e32 v1, v3, v1
	v_fma_f32 v3, 0x3df6dbef, v60, -v48
	v_add_f32_e32 v62, v7, v21
	v_mul_f32_e32 v50, 0xbf6f5d39, v108
	v_add_f32_e32 v0, v2, v0
	v_fmamk_f32 v2, v61, 0xbeb58ec6, v49
	v_sub_f32_e32 v110, v22, v4
	v_add_f32_e32 v66, v4, v22
	v_mul_f32_e32 v51, 0xbf29c268, v109
	v_add_f32_e32 v1, v3, v1
	v_fma_f32 v3, 0xbeb58ec6, v62, -v50
	v_add_f32_e32 v67, v5, v23
	v_mul_f32_e32 v52, 0xbf29c268, v110
	v_add_f32_e32 v0, v2, v0
	v_fmamk_f32 v2, v66, 0xbf3f9e67, v51
	v_mul_f32_e32 v68, 0xbf52af12, v35
	v_add_f32_e32 v1, v3, v1
	v_fma_f32 v3, 0xbf3f9e67, v67, -v52
	v_mul_f32_e32 v72, 0xbf6f5d39, v37
	v_add_f32_e32 v0, v2, v0
	v_fmamk_f32 v2, v53, 0x3f116cb1, v68
	v_mul_f32_e32 v77, 0xbf52af12, v34
	v_add_f32_e32 v1, v3, v1
	v_sub_f32_e32 v111, v9, v11
	v_fmamk_f32 v3, v55, 0xbeb58ec6, v72
	v_add_f32_e32 v2, v2, v16
	v_fma_f32 v30, 0x3f116cb1, v54, -v77
	v_mul_f32_e32 v80, 0xbf6f5d39, v36
	v_mul_f32_e32 v73, 0xbe750f2a, v40
	v_sub_f32_e32 v112, v8, v10
	v_add_f32_e32 v82, v10, v8
	v_mul_f32_e32 v56, 0xbe750f2a, v111
	v_add_f32_e32 v2, v3, v2
	v_add_f32_e32 v3, v30, v17
	v_fma_f32 v30, 0xbeb58ec6, v58, -v80
	v_fmamk_f32 v32, v59, 0xbf788fa5, v73
	v_mul_f32_e32 v76, 0xbe750f2a, v41
	v_mul_f32_e32 v75, 0x3f29c268, v74
	v_add_f32_e32 v83, v11, v9
	v_mul_f32_e32 v57, 0xbe750f2a, v112
	v_fmamk_f32 v31, v82, 0xbf788fa5, v56
	v_add_f32_e32 v3, v30, v3
	v_add_f32_e32 v30, v32, v2
	v_fma_f32 v32, 0xbf788fa5, v60, -v76
	v_fmamk_f32 v38, v61, 0xbf3f9e67, v75
	v_mul_f32_e32 v78, 0x3f29c268, v108
	v_mul_f32_e32 v63, 0x3f7e222b, v109
	v_fma_f32 v33, 0xbf788fa5, v83, -v57
	v_add_f32_e32 v2, v31, v0
	v_add_f32_e32 v0, v32, v3
	;; [unrolled: 1-line block ×3, first 2 shown]
	v_fma_f32 v31, 0xbf3f9e67, v62, -v78
	v_fmamk_f32 v32, v66, 0x3df6dbef, v63
	v_mul_f32_e32 v81, 0x3f7e222b, v110
	v_mul_f32_e32 v87, 0xbf7e222b, v35
	v_add_f32_e32 v3, v33, v1
	v_add_f32_e32 v0, v31, v0
	v_add_f32_e32 v1, v32, v30
	v_fma_f32 v30, 0x3df6dbef, v67, -v81
	v_mul_f32_e32 v65, 0x3eedf032, v111
	v_fmamk_f32 v31, v53, 0x3df6dbef, v87
	v_mul_f32_e32 v88, 0xbe750f2a, v37
	v_mul_f32_e32 v90, 0xbf7e222b, v34
	v_add_f32_e32 v30, v30, v0
	v_fmamk_f32 v0, v82, 0x3f62ad3f, v65
	v_add_f32_e32 v31, v31, v16
	v_fmamk_f32 v32, v55, 0xbf788fa5, v88
	v_fma_f32 v33, 0x3df6dbef, v54, -v90
	v_mul_f32_e32 v91, 0xbe750f2a, v36
	v_mul_f32_e32 v86, 0x3f6f5d39, v40
	v_add_f32_e32 v0, v0, v1
	v_add_f32_e32 v1, v32, v31
	;; [unrolled: 1-line block ×3, first 2 shown]
	v_fma_f32 v32, 0xbf788fa5, v58, -v91
	v_fmamk_f32 v33, v59, 0xbeb58ec6, v86
	v_mul_f32_e32 v92, 0x3f6f5d39, v41
	v_mul_f32_e32 v84, 0x3eedf032, v74
	;; [unrolled: 1-line block ×3, first 2 shown]
	v_add_f32_e32 v31, v32, v31
	v_add_f32_e32 v1, v33, v1
	v_fma_f32 v32, 0xbeb58ec6, v60, -v92
	v_fmamk_f32 v33, v61, 0x3f62ad3f, v84
	v_mul_f32_e32 v94, 0x3eedf032, v108
	v_mul_f32_e32 v85, 0xbf52af12, v109
	v_fma_f32 v38, 0x3f62ad3f, v83, -v79
	v_add_f32_e32 v31, v32, v31
	v_add_f32_e32 v32, v33, v1
	v_fma_f32 v33, 0x3f62ad3f, v62, -v94
	v_fmamk_f32 v39, v66, 0x3f116cb1, v85
	v_mul_f32_e32 v93, 0xbf52af12, v110
	v_mul_f32_e32 v99, 0xbf6f5d39, v35
	v_add_f32_e32 v1, v38, v30
	v_add_f32_e32 v30, v33, v31
	;; [unrolled: 1-line block ×3, first 2 shown]
	v_fma_f32 v32, 0x3f116cb1, v67, -v93
	v_mul_f32_e32 v89, 0xbf29c268, v111
	v_fmamk_f32 v33, v53, 0xbeb58ec6, v99
	v_mul_f32_e32 v100, 0x3f29c268, v37
	v_mul_f32_e32 v103, 0xbf6f5d39, v34
	v_add_f32_e32 v30, v32, v30
	v_fmamk_f32 v32, v82, 0xbf3f9e67, v89
	v_add_f32_e32 v33, v33, v16
	v_fmamk_f32 v39, v55, 0xbf3f9e67, v100
	v_fma_f32 v95, 0xbeb58ec6, v54, -v103
	v_mul_f32_e32 v105, 0x3f29c268, v36
	v_mul_f32_e32 v96, 0x3eedf032, v40
	v_add_f32_e32 v38, v32, v31
	v_add_f32_e32 v31, v39, v33
	;; [unrolled: 1-line block ×3, first 2 shown]
	v_fma_f32 v33, 0xbf3f9e67, v58, -v105
	v_fmamk_f32 v39, v59, 0x3f62ad3f, v96
	v_mul_f32_e32 v106, 0x3eedf032, v41
	v_mul_f32_e32 v97, 0xbf7e222b, v74
	;; [unrolled: 1-line block ×3, first 2 shown]
	v_add_f32_e32 v32, v33, v32
	v_add_f32_e32 v31, v39, v31
	v_fma_f32 v33, 0x3f62ad3f, v60, -v106
	v_fmamk_f32 v39, v61, 0x3df6dbef, v97
	v_mul_f32_e32 v102, 0xbf7e222b, v108
	v_mul_f32_e32 v98, 0x3e750f2a, v109
	v_fma_f32 v101, 0xbf3f9e67, v83, -v95
	v_add_f32_e32 v32, v33, v32
	v_add_f32_e32 v31, v39, v31
	v_fma_f32 v33, 0x3df6dbef, v62, -v102
	v_fmamk_f32 v107, v66, 0xbf788fa5, v98
	v_mul_f32_e32 v104, 0x3e750f2a, v110
	v_add_f32_e32 v39, v101, v30
	v_mul_f32_e32 v30, 0xbf29c268, v35
	v_add_f32_e32 v32, v33, v32
	v_add_f32_e32 v31, v107, v31
	v_fma_f32 v33, 0xbf788fa5, v67, -v104
	v_mul_f32_e32 v101, 0x3f52af12, v111
	v_fma_f32 v107, 0xbf3f9e67, v53, -v30
	v_mul_f32_e32 v113, 0x3f7e222b, v37
	v_mul_f32_e32 v114, 0xbf29c268, v34
	v_add_f32_e32 v33, v33, v32
	v_fmamk_f32 v32, v82, 0x3f116cb1, v101
	v_add_f32_e32 v107, v107, v16
	v_fma_f32 v115, 0x3df6dbef, v55, -v113
	v_fmamk_f32 v116, v54, 0xbf3f9e67, v114
	v_mul_f32_e32 v117, 0x3f7e222b, v36
	v_mul_f32_e32 v118, 0xbf52af12, v40
	v_add_f32_e32 v32, v32, v31
	v_add_f32_e32 v31, v115, v107
	;; [unrolled: 1-line block ×3, first 2 shown]
	v_fmamk_f32 v116, v58, 0x3df6dbef, v117
	v_fma_f32 v119, 0x3f116cb1, v59, -v118
	v_mul_f32_e32 v120, 0xbf52af12, v41
	v_mul_f32_e32 v121, 0x3e750f2a, v74
	;; [unrolled: 1-line block ×3, first 2 shown]
	v_add_f32_e32 v115, v116, v115
	v_add_f32_e32 v31, v119, v31
	v_fmamk_f32 v116, v60, 0x3f116cb1, v120
	v_fma_f32 v119, 0xbf788fa5, v61, -v121
	v_mul_f32_e32 v124, 0x3eedf032, v109
	v_fmac_f32_e32 v30, 0xbf3f9e67, v53
	v_fma_f32 v114, 0xbf3f9e67, v54, -v114
	v_add_f32_e32 v115, v116, v115
	v_add_f32_e32 v31, v119, v31
	v_fmamk_f32 v116, v62, 0xbf788fa5, v122
	v_mul_f32_e32 v119, 0x3eedf032, v110
	v_mul_f32_e32 v107, 0x3f52af12, v112
	v_fma_f32 v125, 0x3f62ad3f, v66, -v124
	v_add_f32_e32 v30, v30, v16
	v_add_f32_e32 v115, v116, v115
	v_fmamk_f32 v116, v67, 0x3f62ad3f, v119
	v_fmac_f32_e32 v113, 0x3df6dbef, v55
	v_add_f32_e32 v114, v114, v17
	v_fma_f32 v117, 0x3df6dbef, v58, -v117
	v_fma_f32 v123, 0x3f116cb1, v83, -v107
	v_add_f32_e32 v115, v116, v115
	v_mul_f32_e32 v116, 0xbf6f5d39, v111
	v_add_f32_e32 v31, v125, v31
	v_add_f32_e32 v30, v113, v30
	v_fmac_f32_e32 v118, 0x3f116cb1, v59
	v_add_f32_e32 v114, v117, v114
	v_fma_f32 v113, 0xbeb58ec6, v82, -v116
	v_fma_f32 v117, 0x3f116cb1, v60, -v120
	v_add_f32_e32 v33, v123, v33
	v_mul_f32_e32 v123, 0xbf6f5d39, v112
	v_add_f32_e32 v118, v118, v30
	v_fmac_f32_e32 v121, 0xbf788fa5, v61
	v_add_f32_e32 v30, v113, v31
	v_add_f32_e32 v113, v117, v114
	v_fma_f32 v114, 0xbf788fa5, v62, -v122
	v_fmamk_f32 v31, v83, 0xbeb58ec6, v123
	v_add_f32_e32 v117, v121, v118
	v_fmac_f32_e32 v124, 0x3f62ad3f, v66
	v_mul_f32_e32 v35, 0xbe750f2a, v35
	v_add_f32_e32 v113, v114, v113
	v_mul_f32_e32 v114, 0xbe750f2a, v34
	v_add_f32_e32 v31, v31, v115
	v_add_f32_e32 v34, v124, v117
	v_fma_f32 v115, 0x3f62ad3f, v67, -v119
	v_fma_f32 v117, 0xbf788fa5, v53, -v35
	v_mul_f32_e32 v37, 0x3eedf032, v37
	v_fmamk_f32 v118, v54, 0xbf788fa5, v114
	v_mul_f32_e32 v36, 0x3eedf032, v36
	v_add_f32_e32 v113, v115, v113
	v_add_f32_e32 v115, v117, v16
	v_fma_f32 v117, 0x3f62ad3f, v55, -v37
	v_add_f32_e32 v118, v118, v17
	v_fmamk_f32 v119, v58, 0x3f62ad3f, v36
	v_mul_f32_e32 v40, 0xbf29c268, v40
	v_mul_f32_e32 v41, 0xbf29c268, v41
	v_fmac_f32_e32 v35, 0xbf788fa5, v53
	v_fma_f32 v114, 0xbf788fa5, v54, -v114
	v_fmac_f32_e32 v116, 0xbeb58ec6, v82
	v_add_f32_e32 v115, v117, v115
	v_add_f32_e32 v117, v119, v118
	v_fma_f32 v118, 0xbf3f9e67, v59, -v40
	v_fmamk_f32 v119, v60, 0xbf3f9e67, v41
	v_mul_f32_e32 v74, 0x3f52af12, v74
	v_add_f32_e32 v35, v35, v16
	v_fmac_f32_e32 v37, 0x3f62ad3f, v55
	v_add_f32_e32 v114, v114, v17
	v_fma_f32 v36, 0x3f62ad3f, v58, -v36
	v_add_f32_e32 v34, v116, v34
	v_add_f32_e32 v115, v118, v115
	;; [unrolled: 1-line block ×3, first 2 shown]
	v_fma_f32 v117, 0x3f116cb1, v61, -v74
	v_mul_f32_e32 v108, 0x3f52af12, v108
	v_add_f32_e32 v35, v37, v35
	v_add_f32_e32 v36, v36, v114
	v_fmac_f32_e32 v40, 0xbf3f9e67, v59
	v_fma_f32 v37, 0xbf3f9e67, v60, -v41
	v_mul_f32_e32 v109, 0xbf6f5d39, v109
	v_add_f32_e32 v115, v117, v115
	v_fmamk_f32 v117, v62, 0x3f116cb1, v108
	v_mul_f32_e32 v110, 0xbf6f5d39, v110
	v_add_f32_e32 v35, v40, v35
	v_add_f32_e32 v36, v37, v36
	v_fmac_f32_e32 v74, 0x3f116cb1, v61
	v_fma_f32 v37, 0x3f116cb1, v62, -v108
	s_clause 0x1
	s_load_dwordx2 s[6:7], s[4:5], 0x20
	s_load_dwordx2 s[2:3], s[4:5], 0x8
	v_fma_f32 v118, 0xbeb58ec6, v66, -v109
	v_add_f32_e32 v41, v117, v116
	v_fmamk_f32 v40, v67, 0xbeb58ec6, v110
	v_mul_f32_e32 v108, 0x3f7e222b, v111
	v_mul_f32_e32 v111, 0x3f7e222b, v112
	v_add_f32_e32 v35, v74, v35
	v_add_f32_e32 v36, v37, v36
	v_fmac_f32_e32 v109, 0xbeb58ec6, v66
	v_fma_f32 v37, 0xbeb58ec6, v67, -v110
	v_fma_f32 v120, 0xbeb58ec6, v83, -v123
	v_add_f32_e32 v114, v118, v115
	v_add_f32_e32 v40, v40, v41
	v_fma_f32 v41, 0x3df6dbef, v82, -v108
	v_fmamk_f32 v74, v83, 0x3df6dbef, v111
	v_add_f32_e32 v109, v109, v35
	v_add_f32_e32 v110, v37, v36
	v_fmac_f32_e32 v108, 0x3df6dbef, v82
	v_fma_f32 v111, 0x3df6dbef, v83, -v111
	v_add_f32_e32 v35, v120, v113
	v_add_f32_e32 v36, v41, v114
	;; [unrolled: 1-line block ×5, first 2 shown]
	v_mul_lo_u16 v74, v69, 13
	s_waitcnt lgkmcnt(0)
	s_barrier
	buffer_gl0_inv
	s_and_saveexec_b32 s0, vcc_lo
	s_cbranch_execz .LBB0_7
; %bb.6:
	v_mul_f32_e32 v109, 0x3f62ad3f, v54
	v_mul_f32_e32 v111, 0x3f116cb1, v54
	;; [unrolled: 1-line block ×12, first 2 shown]
	v_add_f32_e32 v54, v103, v54
	v_mul_f32_e32 v114, 0x3f116cb1, v55
	v_mul_f32_e32 v116, 0xbeb58ec6, v55
	;; [unrolled: 1-line block ×4, first 2 shown]
	v_add_f32_e32 v54, v54, v17
	v_add_f32_e32 v58, v105, v58
	v_mul_f32_e32 v105, 0x3f62ad3f, v60
	v_sub_f32_e32 v53, v53, v99
	v_sub_f32_e32 v55, v55, v100
	v_mul_f32_e32 v103, 0x3df6dbef, v59
	v_add_f32_e32 v54, v58, v54
	v_add_f32_e32 v58, v106, v105
	;; [unrolled: 1-line block ×3, first 2 shown]
	v_mul_f32_e32 v120, 0x3df6dbef, v60
	v_mul_f32_e32 v121, 0xbf788fa5, v59
	v_mul_f32_e32 v122, 0xbf788fa5, v60
	v_add_f32_e32 v54, v58, v54
	v_mul_f32_e32 v58, 0x3df6dbef, v62
	v_add_f32_e32 v53, v55, v53
	v_add_f32_e32 v55, v90, v113
	v_mul_f32_e32 v123, 0xbeb58ec6, v59
	v_mul_f32_e32 v60, 0xbeb58ec6, v60
	;; [unrolled: 1-line block ×3, first 2 shown]
	v_add_f32_e32 v58, v102, v58
	v_mul_f32_e32 v102, 0xbf788fa5, v67
	v_add_f32_e32 v91, v91, v119
	v_add_f32_e32 v55, v55, v17
	;; [unrolled: 1-line block ×4, first 2 shown]
	v_mul_f32_e32 v105, 0xbeb58ec6, v61
	v_mul_f32_e32 v106, 0xbeb58ec6, v62
	;; [unrolled: 1-line block ×7, first 2 shown]
	v_add_f32_e32 v54, v58, v54
	v_add_f32_e32 v102, v104, v102
	v_sub_f32_e32 v59, v59, v96
	v_add_f32_e32 v55, v91, v55
	v_mul_f32_e32 v91, 0x3f116cb1, v83
	v_add_f32_e32 v60, v92, v60
	v_add_f32_e32 v19, v25, v19
	;; [unrolled: 1-line block ×3, first 2 shown]
	v_mul_f32_e32 v58, 0xbf3f9e67, v67
	v_mul_f32_e32 v126, 0x3df6dbef, v67
	;; [unrolled: 1-line block ×3, first 2 shown]
	v_add_f32_e32 v53, v59, v53
	v_sub_f32_e32 v61, v61, v97
	v_add_f32_e32 v54, v102, v54
	v_add_f32_e32 v91, v107, v91
	;; [unrolled: 1-line block ×6, first 2 shown]
	v_mul_f32_e32 v113, 0xbf788fa5, v83
	v_mul_f32_e32 v97, 0x3f62ad3f, v83
	;; [unrolled: 1-line block ×3, first 2 shown]
	v_add_f32_e32 v61, v61, v53
	v_add_f32_e32 v53, v91, v54
	;; [unrolled: 1-line block ×6, first 2 shown]
	v_mul_f32_e32 v100, 0xbf3f9e67, v66
	v_mul_f32_e32 v104, 0x3df6dbef, v66
	v_add_f32_e32 v54, v55, v54
	v_add_f32_e32 v55, v95, v83
	;; [unrolled: 1-line block ×4, first 2 shown]
	v_mul_f32_e32 v90, 0x3f116cb1, v66
	v_mul_f32_e32 v66, 0xbf788fa5, v66
	;; [unrolled: 1-line block ×6, first 2 shown]
	v_sub_f32_e32 v82, v112, v87
	v_add_f32_e32 v67, v77, v111
	v_add_f32_e32 v55, v55, v54
	v_sub_f32_e32 v54, v110, v68
	v_add_f32_e32 v26, v44, v109
	v_sub_f32_e32 v21, v108, v43
	v_add_f32_e32 v9, v9, v19
	v_add_f32_e32 v8, v8, v20
	v_sub_f32_e32 v66, v66, v98
	v_add_f32_e32 v60, v82, v16
	v_add_f32_e32 v67, v67, v17
	;; [unrolled: 1-line block ×6, first 2 shown]
	v_sub_f32_e32 v21, v114, v45
	v_add_f32_e32 v9, v11, v9
	v_add_f32_e32 v8, v10, v8
	;; [unrolled: 1-line block ×3, first 2 shown]
	v_sub_f32_e32 v66, v118, v88
	v_add_f32_e32 v77, v80, v117
	v_sub_f32_e32 v72, v116, v72
	v_add_f32_e32 v17, v24, v17
	v_add_f32_e32 v19, v48, v120
	v_add_f32_e32 v16, v21, v16
	v_sub_f32_e32 v20, v103, v47
	v_add_f32_e32 v5, v5, v9
	v_add_f32_e32 v4, v4, v8
	;; [unrolled: 4-line block ×11, first 2 shown]
	v_and_b32_e32 v12, 0xffff, v74
	v_add_f32_e32 v60, v66, v60
	v_sub_f32_e32 v66, v92, v89
	v_add_f32_e32 v67, v68, v67
	v_add_f32_e32 v68, v79, v97
	;; [unrolled: 1-line block ×3, first 2 shown]
	v_sub_f32_e32 v27, v59, v65
	v_sub_f32_e32 v62, v62, v101
	v_add_f32_e32 v5, v9, v8
	v_add_f32_e32 v4, v7, v6
	;; [unrolled: 1-line block ×4, first 2 shown]
	v_add_lshl_u32 v8, v42, v12, 3
	v_add_f32_e32 v54, v66, v60
	v_add_f32_e32 v18, v68, v67
	;; [unrolled: 1-line block ×4, first 2 shown]
	ds_write2_b64 v8, v[6:7], v[4:5] offset1:1
	ds_write2_b64 v8, v[17:18], v[54:55] offset0:2 offset1:3
	ds_write2_b64 v8, v[52:53], v[30:31] offset0:4 offset1:5
	ds_write2_b64 v8, v[36:37], v[40:41] offset0:6 offset1:7
	ds_write2_b64 v8, v[34:35], v[32:33] offset0:8 offset1:9
	ds_write2_b64 v8, v[38:39], v[0:1] offset0:10 offset1:11
	ds_write_b64 v8, v[2:3] offset:96
.LBB0_7:
	s_or_b32 exec_lo, exec_lo, s0
	v_add_lshl_u32 v72, v42, v69, 3
	s_waitcnt lgkmcnt(0)
	s_barrier
	buffer_gl0_inv
	v_cmp_gt_u16_e64 s0, 52, v69
	v_add_nc_u32_e32 v4, 0x400, v72
	ds_read2_b64 v[20:23], v72 offset1:117
	ds_read2_b64 v[24:27], v4 offset0:106 offset1:223
	ds_read_b64 v[28:29], v72 offset:3744
	s_and_saveexec_b32 s1, s0
	s_cbranch_execz .LBB0_9
; %bb.8:
	v_add_nc_u32_e32 v8, 0x800, v72
	ds_read2_b64 v[4:7], v72 offset0:65 offset1:182
	ds_read2_b64 v[8:11], v8 offset0:43 offset1:160
	ds_read_b64 v[32:33], v72 offset:4264
	s_waitcnt lgkmcnt(2)
	v_mov_b32_e32 v36, v6
	v_mov_b32_e32 v37, v7
	v_mov_b32_e32 v30, v4
	s_waitcnt lgkmcnt(1)
	v_mov_b32_e32 v40, v8
	v_mov_b32_e32 v41, v9
	;; [unrolled: 1-line block ×5, first 2 shown]
.LBB0_9:
	s_or_b32 exec_lo, exec_lo, s1
	v_and_b32_e32 v4, 0xff, v69
	v_mov_b32_e32 v7, 5
	v_mov_b32_e32 v43, 0x41
	v_mul_lo_u16 v4, 0x4f, v4
	v_lshrrev_b16 v44, 10, v4
	v_add_nc_u16 v4, v69, 0x41
	v_mul_lo_u16 v5, v44, 13
	v_and_b32_e32 v6, 0xff, v4
	v_mul_u32_u24_sdwa v44, v44, v43 dst_sel:DWORD dst_unused:UNUSED_PAD src0_sel:WORD_0 src1_sel:DWORD
	v_sub_nc_u16 v45, v69, v5
	v_mul_lo_u16 v5, 0x4f, v6
	v_lshlrev_b32_sdwa v6, v7, v45 dst_sel:DWORD dst_unused:UNUSED_PAD src0_sel:DWORD src1_sel:BYTE_0
	v_lshrrev_b16 v76, 10, v5
	v_add_nc_u32_sdwa v44, v44, v45 dst_sel:DWORD dst_unused:UNUSED_PAD src0_sel:DWORD src1_sel:BYTE_0
	s_clause 0x1
	global_load_dwordx4 v[16:19], v6, s[2:3]
	global_load_dwordx4 v[12:15], v6, s[2:3] offset:16
	v_mul_lo_u16 v5, v76, 13
	v_add_lshl_u32 v77, v42, v44, 3
	v_sub_nc_u16 v75, v4, v5
	v_lshlrev_b32_sdwa v4, v7, v75 dst_sel:DWORD dst_unused:UNUSED_PAD src0_sel:DWORD src1_sel:BYTE_0
	s_clause 0x1
	global_load_dwordx4 v[8:11], v4, s[2:3]
	global_load_dwordx4 v[4:7], v4, s[2:3] offset:16
	s_load_dwordx4 s[4:7], s[6:7], 0x0
	s_waitcnt vmcnt(0) lgkmcnt(0)
	s_barrier
	buffer_gl0_inv
	v_mul_f32_e32 v44, v23, v17
	v_mul_f32_e32 v45, v22, v17
	;; [unrolled: 1-line block ×8, first 2 shown]
	v_fma_f32 v44, v22, v16, -v44
	v_fmac_f32_e32 v45, v23, v16
	v_fma_f32 v46, v24, v18, -v46
	v_fmac_f32_e32 v47, v25, v18
	;; [unrolled: 2-line block ×4, first 2 shown]
	v_mul_f32_e32 v22, v37, v9
	v_mul_f32_e32 v23, v41, v11
	;; [unrolled: 1-line block ×8, first 2 shown]
	v_fma_f32 v22, v36, v8, -v22
	v_fma_f32 v23, v40, v10, -v23
	v_fmac_f32_e32 v28, v41, v10
	v_fma_f32 v24, v34, v4, -v24
	v_fmac_f32_e32 v29, v35, v4
	;; [unrolled: 2-line block ×3, first 2 shown]
	v_add_f32_e32 v32, v20, v44
	v_add_f32_e32 v33, v46, v48
	v_sub_f32_e32 v34, v44, v46
	v_sub_f32_e32 v35, v52, v48
	v_add_f32_e32 v40, v44, v52
	v_sub_f32_e32 v41, v46, v44
	v_sub_f32_e32 v50, v48, v52
	;; [unrolled: 3-line block ×3, first 2 shown]
	v_fmac_f32_e32 v27, v37, v8
	v_sub_f32_e32 v36, v45, v53
	v_sub_f32_e32 v37, v47, v49
	v_add_f32_e32 v51, v21, v45
	v_sub_f32_e32 v55, v44, v52
	v_sub_f32_e32 v56, v46, v48
	v_add_f32_e32 v59, v45, v53
	;; [unrolled: 3-line block ×3, first 2 shown]
	v_fma_f32 v44, -0.5, v33, v20
	v_add_f32_e32 v63, v34, v35
	v_fma_f32 v46, -0.5, v40, v20
	v_add_f32_e32 v65, v41, v50
	;; [unrolled: 2-line block ×3, first 2 shown]
	v_add_f32_e32 v35, v23, v24
	v_sub_f32_e32 v40, v22, v23
	v_sub_f32_e32 v41, v25, v24
	v_add_f32_e32 v58, v28, v29
	v_add_f32_e32 v34, v51, v47
	;; [unrolled: 1-line block ×3, first 2 shown]
	v_sub_f32_e32 v20, v27, v26
	v_sub_f32_e32 v32, v22, v25
	v_add_f32_e32 v61, v62, v48
	v_fmamk_f32 v48, v36, 0x3f737871, v44
	v_fmac_f32_e32 v44, 0xbf737871, v36
	v_fmamk_f32 v50, v37, 0xbf737871, v46
	v_fmac_f32_e32 v46, 0x3f737871, v37
	v_fma_f32 v35, -0.5, v35, v30
	v_add_f32_e32 v41, v40, v41
	v_fma_f32 v40, -0.5, v58, v31
	v_fma_f32 v47, -0.5, v59, v21
	v_sub_f32_e32 v21, v28, v29
	v_sub_f32_e32 v33, v23, v24
	;; [unrolled: 1-line block ×4, first 2 shown]
	v_add_f32_e32 v62, v34, v49
	v_fmamk_f32 v49, v55, 0xbf737871, v45
	v_fmac_f32_e32 v48, 0x3f167918, v37
	v_fmac_f32_e32 v44, 0xbf167918, v37
	;; [unrolled: 1-line block ×4, first 2 shown]
	v_fmamk_f32 v36, v20, 0xbf737871, v35
	v_fmamk_f32 v37, v32, 0x3f737871, v40
	v_fmamk_f32 v51, v56, 0x3f737871, v47
	v_fmac_f32_e32 v47, 0xbf737871, v56
	v_fmac_f32_e32 v45, 0x3f737871, v55
	v_add_f32_e32 v34, v59, v60
	v_fmac_f32_e32 v49, 0xbf167918, v56
	v_fmac_f32_e32 v36, 0xbf167918, v21
	;; [unrolled: 1-line block ×6, first 2 shown]
	v_add_f32_e32 v52, v61, v52
	v_add_f32_e32 v53, v62, v53
	v_fmac_f32_e32 v48, 0x3e9e377a, v63
	v_fmac_f32_e32 v49, 0x3e9e377a, v54
	;; [unrolled: 1-line block ×10, first 2 shown]
	ds_write2_b64 v77, v[52:53], v[48:49] offset1:13
	ds_write2_b64 v77, v[50:51], v[46:47] offset0:26 offset1:39
	ds_write_b64 v77, v[44:45] offset:416
	s_and_saveexec_b32 s1, s0
	s_cbranch_execz .LBB0_11
; %bb.10:
	v_mul_f32_e32 v44, 0x3f737871, v32
	v_mul_f32_e32 v45, 0x3f737871, v20
	;; [unrolled: 1-line block ×5, first 2 shown]
	v_sub_f32_e32 v40, v40, v44
	v_add_f32_e32 v35, v35, v45
	v_add_f32_e32 v44, v31, v27
	v_mul_f32_e32 v34, 0x3e9e377a, v34
	v_add_f32_e32 v45, v30, v22
	v_sub_f32_e32 v40, v40, v47
	v_add_f32_e32 v46, v46, v35
	v_add_f32_e32 v44, v44, v28
	;; [unrolled: 1-line block ×8, first 2 shown]
	v_fmac_f32_e32 v31, -0.5, v47
	v_add_f32_e32 v41, v45, v24
	v_sub_f32_e32 v22, v23, v22
	v_fmac_f32_e32 v30, -0.5, v46
	v_sub_f32_e32 v23, v24, v25
	v_mul_u32_u24_sdwa v24, v76, v43 dst_sel:DWORD dst_unused:UNUSED_PAD src0_sel:WORD_0 src1_sel:DWORD
	v_sub_f32_e32 v44, v28, v27
	v_sub_f32_e32 v45, v29, v26
	v_fmamk_f32 v27, v33, 0xbf737871, v31
	v_add_f32_e32 v29, v40, v26
	v_fmac_f32_e32 v31, 0x3f737871, v33
	v_fmamk_f32 v26, v21, 0x3f737871, v30
	v_fmac_f32_e32 v30, 0xbf737871, v21
	v_add_f32_e32 v21, v22, v23
	v_add_nc_u32_sdwa v22, v24, v75 dst_sel:DWORD dst_unused:UNUSED_PAD src0_sel:DWORD src1_sel:BYTE_0
	v_add_f32_e32 v40, v44, v45
	v_fmac_f32_e32 v27, 0x3f167918, v32
	v_fmac_f32_e32 v31, 0xbf167918, v32
	;; [unrolled: 1-line block ×4, first 2 shown]
	v_add_f32_e32 v28, v41, v25
	v_add_lshl_u32 v20, v42, v22, 3
	v_fmac_f32_e32 v27, 0x3e9e377a, v40
	v_fmac_f32_e32 v31, 0x3e9e377a, v40
	;; [unrolled: 1-line block ×4, first 2 shown]
	ds_write2_b64 v20, v[28:29], v[34:35] offset1:13
	ds_write2_b64 v20, v[30:31], v[26:27] offset0:26 offset1:39
	ds_write_b64 v20, v[36:37] offset:416
.LBB0_11:
	s_or_b32 exec_lo, exec_lo, s1
	v_lshlrev_b32_e32 v20, 6, v69
	s_waitcnt lgkmcnt(0)
	s_barrier
	buffer_gl0_inv
	v_add_nc_u32_e32 v44, 0x400, v72
	s_clause 0x3
	global_load_dwordx4 v[32:35], v20, s[2:3] offset:416
	global_load_dwordx4 v[28:31], v20, s[2:3] offset:432
	;; [unrolled: 1-line block ×4, first 2 shown]
	v_add_nc_u32_e32 v48, 0x800, v72
	v_add_nc_u32_e32 v52, 0xc00, v72
	ds_read2_b64 v[40:43], v72 offset0:65 offset1:130
	ds_read2_b64 v[44:47], v44 offset0:67 offset1:132
	v_lshl_add_u32 v73, v69, 3, v71
	ds_read2_b64 v[48:51], v48 offset0:69 offset1:134
	ds_read2_b64 v[52:55], v52 offset0:71 offset1:136
	ds_read_b64 v[59:60], v72
	v_add_nc_u32_e32 v56, 0x400, v73
	v_add_nc_u32_e32 v57, 0x800, v73
	;; [unrolled: 1-line block ×3, first 2 shown]
	s_waitcnt vmcnt(3) lgkmcnt(4)
	v_mul_f32_e32 v61, v41, v33
	v_mul_f32_e32 v62, v40, v33
	;; [unrolled: 1-line block ×4, first 2 shown]
	s_waitcnt vmcnt(2) lgkmcnt(3)
	v_mul_f32_e32 v66, v45, v29
	v_mul_f32_e32 v68, v47, v31
	;; [unrolled: 1-line block ×3, first 2 shown]
	s_waitcnt vmcnt(1) lgkmcnt(2)
	v_mul_f32_e32 v79, v49, v25
	s_waitcnt vmcnt(0) lgkmcnt(1)
	v_mul_f32_e32 v83, v53, v21
	v_mul_f32_e32 v84, v52, v21
	;; [unrolled: 1-line block ×8, first 2 shown]
	v_fma_f32 v40, v40, v32, -v61
	v_fmac_f32_e32 v62, v41, v32
	v_fma_f32 v41, v42, v34, -v63
	v_fmac_f32_e32 v65, v43, v34
	v_fma_f32 v42, v44, v28, -v66
	v_fma_f32 v43, v46, v30, -v68
	v_fmac_f32_e32 v78, v47, v30
	v_fma_f32 v44, v48, v24, -v79
	;; [unrolled: 3-line block ×3, first 2 shown]
	v_fmac_f32_e32 v84, v53, v20
	v_fmac_f32_e32 v67, v45, v28
	;; [unrolled: 1-line block ×3, first 2 shown]
	v_fma_f32 v45, v50, v26, -v81
	v_fmac_f32_e32 v82, v51, v26
	v_add_f32_e32 v48, v40, v46
	v_add_f32_e32 v49, v62, v86
	;; [unrolled: 1-line block ×4, first 2 shown]
	v_sub_f32_e32 v46, v40, v46
	v_sub_f32_e32 v61, v43, v44
	v_add_f32_e32 v52, v42, v45
	v_add_f32_e32 v53, v67, v82
	v_sub_f32_e32 v47, v41, v47
	v_sub_f32_e32 v55, v65, v84
	;; [unrolled: 1-line block ×4, first 2 shown]
	v_add_f32_e32 v63, v43, v44
	v_add_f32_e32 v65, v78, v80
	v_mul_f32_e32 v67, 0x3f248dbb, v46
	v_mul_f32_e32 v82, 0xbf248dbb, v61
	v_add_f32_e32 v66, v61, v46
	v_add_f32_e32 v87, v50, v48
	v_add_f32_e32 v88, v51, v49
	v_mul_f32_e32 v89, 0x3f7c1c5c, v61
	v_fmac_f32_e32 v67, 0x3f7c1c5c, v47
	v_fmac_f32_e32 v82, 0x3f7c1c5c, v46
	v_sub_f32_e32 v92, v66, v47
	v_add_f32_e32 v66, v63, v87
	v_add_f32_e32 v93, v65, v88
	v_fma_f32 v89, 0xbf248dbb, v47, -v89
	v_add_f32_e32 v87, v52, v87
	v_add_f32_e32 v88, v53, v88
	v_fmac_f32_e32 v67, 0x3f5db3d7, v42
	v_fmac_f32_e32 v82, 0xbf5db3d7, v42
	;; [unrolled: 1-line block ×3, first 2 shown]
	v_add_f32_e32 v42, v43, v87
	v_add_f32_e32 v43, v78, v88
	v_sub_f32_e32 v54, v62, v86
	v_sub_f32_e32 v62, v78, v80
	s_waitcnt lgkmcnt(0)
	v_add_f32_e32 v40, v52, v59
	v_fmamk_f32 v79, v48, 0x3f441b7d, v59
	v_add_f32_e32 v43, v80, v43
	v_mul_f32_e32 v68, 0x3f248dbb, v54
	v_fmamk_f32 v81, v49, 0x3f441b7d, v60
	v_mul_f32_e32 v83, 0xbf248dbb, v62
	v_fmamk_f32 v84, v63, 0x3f441b7d, v59
	v_fmamk_f32 v85, v65, 0x3f441b7d, v60
	v_add_f32_e32 v41, v53, v60
	v_mul_f32_e32 v90, 0x3f7c1c5c, v62
	v_fmamk_f32 v91, v50, 0x3f441b7d, v59
	v_fmac_f32_e32 v40, -0.5, v66
	v_add_f32_e32 v66, v43, v60
	v_fmac_f32_e32 v60, 0x3f441b7d, v51
	v_fmac_f32_e32 v68, 0x3f7c1c5c, v55
	;; [unrolled: 1-line block ×7, first 2 shown]
	v_fma_f32 v90, 0xbf248dbb, v55, -v90
	v_fmac_f32_e32 v91, 0x3e31d0d4, v63
	v_fmac_f32_e32 v60, 0x3e31d0d4, v65
	v_add_f32_e32 v86, v62, v54
	v_fmac_f32_e32 v68, 0x3f5db3d7, v45
	v_fmac_f32_e32 v79, -0.5, v52
	v_fmac_f32_e32 v81, -0.5, v53
	v_fmac_f32_e32 v83, 0xbf5db3d7, v45
	v_fmac_f32_e32 v84, -0.5, v52
	v_fmac_f32_e32 v85, -0.5, v53
	;; [unrolled: 3-line block ×3, first 2 shown]
	v_sub_f32_e32 v86, v86, v55
	v_fmac_f32_e32 v41, -0.5, v93
	v_fmac_f32_e32 v67, 0x3eaf1d44, v61
	v_fmac_f32_e32 v68, 0x3eaf1d44, v62
	;; [unrolled: 1-line block ×10, first 2 shown]
	v_add_f32_e32 v42, v44, v42
	v_fmac_f32_e32 v91, 0xbf708fb2, v48
	v_fmac_f32_e32 v60, 0xbf708fb2, v49
	v_mul_f32_e32 v94, 0x3f5db3d7, v92
	v_mul_f32_e32 v95, 0x3f5db3d7, v86
	v_fmac_f32_e32 v40, 0x3f5db3d7, v86
	v_fmac_f32_e32 v41, 0xbf5db3d7, v92
	v_add_f32_e32 v52, v68, v79
	v_sub_f32_e32 v53, v81, v67
	v_add_f32_e32 v54, v83, v84
	v_sub_f32_e32 v55, v85, v82
	v_add_f32_e32 v65, v42, v59
	v_add_f32_e32 v42, v90, v91
	v_sub_f32_e32 v43, v60, v89
	v_fma_f32 v50, -2.0, v95, v40
	v_fma_f32 v51, 2.0, v94, v41
	v_fma_f32 v46, -2.0, v68, v52
	v_fma_f32 v47, 2.0, v67, v53
	;; [unrolled: 2-line block ×4, first 2 shown]
	ds_write_b64 v73, v[65:66]
	ds_write2_b64 v73, v[52:53], v[54:55] offset0:65 offset1:130
	ds_write2_b64 v58, v[44:45], v[46:47] offset0:71 offset1:136
	;; [unrolled: 1-line block ×4, first 2 shown]
	s_waitcnt lgkmcnt(0)
	s_barrier
	buffer_gl0_inv
	s_and_saveexec_b32 s2, vcc_lo
	s_cbranch_execz .LBB0_13
; %bb.12:
	v_add_co_u32 v63, s1, s14, v70
	v_add_co_ci_u32_e64 v80, null, s15, 0, s1
	v_add_co_u32 v59, s1, 0x1000, v63
	v_add_co_ci_u32_e64 v60, s1, 0, v80, s1
	v_add_co_u32 v61, s1, 0x1248, v63
	v_add_co_ci_u32_e64 v62, s1, 0, v80, s1
	global_load_dwordx2 v[59:60], v[59:60], off offset:584
	v_add_co_u32 v78, s1, 0x1800, v63
	global_load_dwordx2 v[67:68], v[61:62], off offset:360
	v_add_co_ci_u32_e64 v79, s1, 0, v80, s1
	s_clause 0x3
	global_load_dwordx2 v[98:99], v[61:62], off offset:720
	global_load_dwordx2 v[100:101], v[61:62], off offset:1080
	;; [unrolled: 1-line block ×4, first 2 shown]
	v_add_co_u32 v61, s1, 0x2000, v63
	v_add_co_ci_u32_e64 v62, s1, 0, v80, s1
	s_clause 0x6
	global_load_dwordx2 v[106:107], v[78:79], off offset:696
	global_load_dwordx2 v[108:109], v[78:79], off offset:1056
	;; [unrolled: 1-line block ×7, first 2 shown]
	ds_read_b64 v[61:62], v73
	s_waitcnt vmcnt(12) lgkmcnt(0)
	v_mul_f32_e32 v63, v62, v60
	v_mul_f32_e32 v79, v61, v60
	v_fma_f32 v78, v61, v59, -v63
	v_fmac_f32_e32 v79, v62, v59
	ds_write_b64 v73, v[78:79]
	ds_read2_b64 v[59:62], v73 offset0:45 offset1:90
	ds_read2_b64 v[78:81], v73 offset0:135 offset1:180
	;; [unrolled: 1-line block ×6, first 2 shown]
	s_waitcnt vmcnt(11) lgkmcnt(5)
	v_mul_f32_e32 v121, v60, v68
	v_mul_f32_e32 v120, v59, v68
	s_waitcnt vmcnt(10)
	v_mul_f32_e32 v122, v62, v99
	v_mul_f32_e32 v68, v61, v99
	s_waitcnt vmcnt(9) lgkmcnt(4)
	v_mul_f32_e32 v123, v79, v101
	v_mul_f32_e32 v63, v78, v101
	s_waitcnt vmcnt(8)
	v_mul_f32_e32 v124, v81, v103
	v_mul_f32_e32 v99, v80, v103
	;; [unrolled: 6-line block ×6, first 2 shown]
	v_fma_f32 v119, v59, v67, -v121
	v_fmac_f32_e32 v120, v60, v67
	v_fma_f32 v67, v61, v98, -v122
	v_fmac_f32_e32 v68, v62, v98
	;; [unrolled: 2-line block ×12, first 2 shown]
	ds_write2_b64 v73, v[119:120], v[67:68] offset0:45 offset1:90
	ds_write2_b64 v73, v[62:63], v[98:99] offset0:135 offset1:180
	;; [unrolled: 1-line block ×6, first 2 shown]
.LBB0_13:
	s_or_b32 exec_lo, exec_lo, s2
	s_waitcnt lgkmcnt(0)
	s_barrier
	buffer_gl0_inv
	s_and_saveexec_b32 s1, vcc_lo
	s_cbranch_execz .LBB0_15
; %bb.14:
	v_add_nc_u32_e32 v44, 0x800, v73
	v_add_nc_u32_e32 v0, 0xc00, v73
	;; [unrolled: 1-line block ×3, first 2 shown]
	ds_read2_b64 v[36:39], v44 offset0:149 offset1:194
	ds_read2_b64 v[0:3], v0 offset0:111 offset1:156
	ds_read_b64 v[65:66], v73
	ds_read2_b64 v[52:55], v73 offset0:45 offset1:90
	ds_read2_b64 v[40:43], v73 offset0:135 offset1:180
	;; [unrolled: 1-line block ×4, first 2 shown]
.LBB0_15:
	s_or_b32 exec_lo, exec_lo, s1
	s_waitcnt lgkmcnt(3)
	v_sub_f32_e32 v86, v53, v3
	v_add_f32_e32 v90, v3, v53
	v_add_f32_e32 v78, v2, v52
	v_sub_f32_e32 v88, v55, v1
	v_sub_f32_e32 v79, v52, v2
	v_mul_f32_e32 v100, 0xbf6f5d39, v86
	v_mul_f32_e32 v102, 0xbeb58ec6, v90
	v_mul_f32_e32 v56, 0xbf29c268, v86
	v_add_f32_e32 v94, v1, v55
	v_add_f32_e32 v80, v0, v54
	v_fma_f32 v58, 0xbeb58ec6, v78, -v100
	v_mul_f32_e32 v104, 0x3f29c268, v88
	v_mul_f32_e32 v57, 0xbf3f9e67, v90
	v_fmamk_f32 v59, v79, 0xbf6f5d39, v102
	v_fmamk_f32 v60, v78, 0xbf3f9e67, v56
	v_mul_f32_e32 v61, 0xbe750f2a, v86
	v_add_f32_e32 v58, v65, v58
	v_fma_f32 v56, 0xbf3f9e67, v78, -v56
	v_sub_f32_e32 v81, v54, v0
	v_mul_f32_e32 v105, 0xbf3f9e67, v94
	v_mul_f32_e32 v82, 0x3f7e222b, v88
	v_fma_f32 v83, 0xbf3f9e67, v80, -v104
	v_mul_f32_e32 v62, 0xbf788fa5, v90
	v_add_f32_e32 v59, v66, v59
	v_add_f32_e32 v60, v65, v60
	v_fmamk_f32 v63, v79, 0x3f29c268, v57
	v_fmamk_f32 v67, v78, 0xbf788fa5, v61
	v_add_f32_e32 v56, v65, v56
	v_fmamk_f32 v84, v81, 0x3f29c268, v105
	v_fmamk_f32 v85, v80, 0x3df6dbef, v82
	v_mul_f32_e32 v87, 0x3df6dbef, v94
	v_add_f32_e32 v58, v83, v58
	v_mul_f32_e32 v83, 0x3eedf032, v88
	v_fma_f32 v82, 0x3df6dbef, v80, -v82
	s_waitcnt lgkmcnt(2)
	v_sub_f32_e32 v93, v41, v39
	v_fmamk_f32 v68, v79, 0x3e750f2a, v62
	v_add_f32_e32 v63, v66, v63
	v_add_f32_e32 v67, v65, v67
	;; [unrolled: 1-line block ×4, first 2 shown]
	v_fmamk_f32 v84, v81, 0xbf7e222b, v87
	v_mul_f32_e32 v85, 0x3f62ad3f, v94
	v_fmamk_f32 v89, v80, 0x3f62ad3f, v83
	v_add_f32_e32 v56, v82, v56
	v_add_f32_e32 v82, v38, v40
	v_mul_f32_e32 v106, 0x3eedf032, v93
	v_fmac_f32_e32 v57, 0xbf29c268, v79
	v_add_f32_e32 v68, v66, v68
	v_fma_f32 v61, 0xbf788fa5, v78, -v61
	v_add_f32_e32 v63, v84, v63
	v_fmamk_f32 v84, v81, 0xbeedf032, v85
	v_add_f32_e32 v67, v89, v67
	v_add_f32_e32 v96, v39, v41
	v_fma_f32 v89, 0x3f62ad3f, v82, -v106
	v_add_f32_e32 v57, v66, v57
	v_fmac_f32_e32 v62, 0xbe750f2a, v79
	v_add_f32_e32 v61, v65, v61
	v_fmac_f32_e32 v87, 0x3f7e222b, v81
	v_add_f32_e32 v68, v84, v68
	v_fma_f32 v84, 0x3f62ad3f, v80, -v83
	v_sub_f32_e32 v83, v40, v38
	v_mul_f32_e32 v107, 0x3f62ad3f, v96
	v_add_f32_e32 v58, v89, v58
	v_mul_f32_e32 v89, 0xbf3f9e67, v96
	v_add_f32_e32 v62, v66, v62
	v_add_f32_e32 v57, v87, v57
	v_mul_f32_e32 v87, 0xbf52af12, v93
	v_fmac_f32_e32 v85, 0x3eedf032, v81
	v_add_f32_e32 v61, v84, v61
	v_fmamk_f32 v84, v83, 0x3eedf032, v107
	v_fmamk_f32 v95, v83, 0x3f29c268, v89
	v_fmamk_f32 v91, v82, 0x3f116cb1, v87
	v_add_f32_e32 v62, v85, v62
	v_mul_f32_e32 v85, 0x3f116cb1, v96
	v_add_f32_e32 v59, v84, v59
	v_mul_f32_e32 v84, 0xbf29c268, v93
	v_fma_f32 v87, 0x3f116cb1, v82, -v87
	v_add_f32_e32 v68, v95, v68
	v_sub_f32_e32 v95, v43, v37
	v_add_f32_e32 v60, v91, v60
	v_fmamk_f32 v91, v83, 0x3f52af12, v85
	v_fmac_f32_e32 v85, 0xbf52af12, v83
	v_fmamk_f32 v92, v82, 0xbf3f9e67, v84
	v_add_f32_e32 v56, v87, v56
	v_add_f32_e32 v97, v37, v43
	v_fma_f32 v87, 0xbf3f9e67, v82, -v84
	v_add_f32_e32 v84, v36, v42
	v_mul_f32_e32 v108, 0xbf7e222b, v95
	v_add_f32_e32 v63, v91, v63
	v_add_f32_e32 v57, v85, v57
	v_sub_f32_e32 v85, v42, v36
	v_mul_f32_e32 v109, 0x3df6dbef, v97
	v_mul_f32_e32 v91, 0x3e750f2a, v95
	v_fmac_f32_e32 v89, 0xbf29c268, v83
	v_add_f32_e32 v61, v87, v61
	v_fma_f32 v87, 0x3df6dbef, v84, -v108
	v_add_f32_e32 v67, v92, v67
	v_fmamk_f32 v92, v85, 0xbf7e222b, v109
	v_fmamk_f32 v98, v84, 0xbf788fa5, v91
	v_add_f32_e32 v62, v89, v62
	v_mul_f32_e32 v89, 0xbf788fa5, v97
	v_add_f32_e32 v58, v87, v58
	v_mul_f32_e32 v87, 0x3f52af12, v95
	v_add_f32_e32 v59, v92, v59
	v_add_f32_e32 v60, v98, v60
	v_fmamk_f32 v92, v85, 0xbe750f2a, v89
	v_mul_f32_e32 v101, 0x3f116cb1, v97
	v_fma_f32 v91, 0xbf788fa5, v84, -v91
	v_fmac_f32_e32 v89, 0x3e750f2a, v85
	v_fmamk_f32 v98, v84, 0x3f116cb1, v87
	s_waitcnt lgkmcnt(0)
	v_add_f32_e32 v99, v47, v49
	v_add_f32_e32 v63, v92, v63
	v_fmamk_f32 v92, v85, 0xbf52af12, v101
	v_add_f32_e32 v56, v91, v56
	v_add_f32_e32 v57, v89, v57
	;; [unrolled: 1-line block ×3, first 2 shown]
	v_sub_f32_e32 v98, v49, v47
	v_fma_f32 v91, 0x3f116cb1, v84, -v87
	v_sub_f32_e32 v89, v48, v46
	v_mul_f32_e32 v111, 0xbf788fa5, v99
	v_add_f32_e32 v68, v92, v68
	v_add_f32_e32 v87, v46, v48
	v_mul_f32_e32 v110, 0x3e750f2a, v98
	v_mul_f32_e32 v92, 0x3eedf032, v98
	v_fmac_f32_e32 v101, 0x3f52af12, v85
	v_add_f32_e32 v61, v91, v61
	v_fmamk_f32 v91, v89, 0x3e750f2a, v111
	v_fma_f32 v103, 0xbf788fa5, v87, -v110
	v_fmamk_f32 v112, v87, 0x3f62ad3f, v92
	v_add_f32_e32 v62, v101, v62
	v_mul_f32_e32 v101, 0x3f62ad3f, v99
	v_add_f32_e32 v59, v91, v59
	v_mul_f32_e32 v91, 0xbf6f5d39, v98
	v_add_f32_e32 v58, v103, v58
	v_add_f32_e32 v60, v112, v60
	v_mul_f32_e32 v114, 0xbeb58ec6, v99
	v_fmamk_f32 v103, v89, 0xbeedf032, v101
	v_fmac_f32_e32 v101, 0x3eedf032, v89
	v_fmamk_f32 v112, v87, 0xbeb58ec6, v91
	v_fma_f32 v92, 0x3f62ad3f, v87, -v92
	v_fmamk_f32 v113, v89, 0x3f6f5d39, v114
	v_add_f32_e32 v63, v103, v63
	v_add_f32_e32 v57, v101, v57
	;; [unrolled: 1-line block ×3, first 2 shown]
	v_sub_f32_e32 v101, v51, v45
	v_add_f32_e32 v103, v45, v51
	v_fma_f32 v67, 0xbeb58ec6, v87, -v91
	v_add_f32_e32 v56, v92, v56
	v_add_f32_e32 v116, v113, v68
	;; [unrolled: 1-line block ×3, first 2 shown]
	v_sub_f32_e32 v92, v50, v44
	v_mul_f32_e32 v112, 0x3f52af12, v101
	v_mul_f32_e32 v113, 0x3f116cb1, v103
	v_add_f32_e32 v117, v67, v61
	v_fmac_f32_e32 v114, 0xbf6f5d39, v89
	v_mul_f32_e32 v61, 0xbf6f5d39, v101
	v_fma_f32 v67, 0x3f116cb1, v91, -v112
	v_fmamk_f32 v68, v92, 0x3f52af12, v113
	v_mul_f32_e32 v118, 0xbeb58ec6, v103
	v_add_f32_e32 v114, v114, v62
	v_fmamk_f32 v62, v91, 0xbeb58ec6, v61
	v_add_f32_e32 v58, v67, v58
	v_add_f32_e32 v59, v68, v59
	v_fmamk_f32 v68, v92, 0x3f6f5d39, v118
	v_fma_f32 v61, 0xbeb58ec6, v91, -v61
	v_add_f32_e32 v67, v62, v60
	v_mul_f32_e32 v60, 0x3f7e222b, v101
	v_mul_f32_e32 v119, 0x3df6dbef, v103
	v_add_f32_e32 v68, v68, v63
	v_add_f32_e32 v56, v61, v56
	v_fmac_f32_e32 v118, 0xbf6f5d39, v92
	v_fmamk_f32 v61, v91, 0x3df6dbef, v60
	v_fmamk_f32 v62, v92, 0xbf7e222b, v119
	v_fma_f32 v63, 0x3df6dbef, v91, -v60
	v_fmac_f32_e32 v119, 0x3f7e222b, v92
	v_add_f32_e32 v57, v118, v57
	v_add_f32_e32 v60, v61, v115
	;; [unrolled: 1-line block ×5, first 2 shown]
	s_barrier
	buffer_gl0_inv
	s_and_saveexec_b32 s1, vcc_lo
	s_cbranch_execz .LBB0_17
; %bb.16:
	v_mul_f32_e32 v114, 0xbf6f5d39, v79
	v_mul_f32_e32 v117, 0x3f29c268, v81
	;; [unrolled: 1-line block ×5, first 2 shown]
	v_sub_f32_e32 v102, v102, v114
	v_mul_f32_e32 v114, 0x3eedf032, v83
	v_sub_f32_e32 v105, v105, v117
	v_add_f32_e32 v100, v115, v100
	v_add_f32_e32 v53, v53, v66
	;; [unrolled: 1-line block ×3, first 2 shown]
	v_sub_f32_e32 v107, v107, v114
	v_mul_f32_e32 v118, 0x3f62ad3f, v82
	v_mul_f32_e32 v121, 0x3e750f2a, v89
	v_add_f32_e32 v104, v116, v104
	v_add_f32_e32 v102, v105, v102
	v_sub_f32_e32 v105, v109, v120
	v_add_f32_e32 v100, v65, v100
	v_add_f32_e32 v53, v55, v53
	;; [unrolled: 1-line block ×4, first 2 shown]
	v_mul_f32_e32 v119, 0x3df6dbef, v84
	v_mul_f32_e32 v107, 0x3f52af12, v92
	v_sub_f32_e32 v109, v111, v121
	v_add_f32_e32 v106, v118, v106
	v_add_f32_e32 v100, v104, v100
	;; [unrolled: 1-line block ×3, first 2 shown]
	v_mul_f32_e32 v111, 0x3df6dbef, v90
	v_add_f32_e32 v41, v41, v53
	v_add_f32_e32 v52, v54, v52
	v_mul_f32_e32 v117, 0xbf788fa5, v87
	v_sub_f32_e32 v104, v113, v107
	v_add_f32_e32 v105, v119, v108
	v_add_f32_e32 v100, v106, v100
	;; [unrolled: 1-line block ×3, first 2 shown]
	v_fmamk_f32 v106, v79, 0x3f7e222b, v111
	v_mul_f32_e32 v113, 0xbf788fa5, v94
	v_mul_f32_e32 v53, 0xbeedf032, v86
	v_add_f32_e32 v41, v43, v41
	v_add_f32_e32 v40, v40, v52
	v_mul_f32_e32 v114, 0x3f116cb1, v91
	v_add_f32_e32 v107, v117, v110
	v_add_f32_e32 v100, v105, v100
	;; [unrolled: 1-line block ×4, first 2 shown]
	v_fmamk_f32 v104, v81, 0x3e750f2a, v113
	v_mul_f32_e32 v110, 0xbeb58ec6, v96
	v_fmamk_f32 v43, v78, 0x3f62ad3f, v53
	v_mul_f32_e32 v52, 0xbf52af12, v88
	v_add_f32_e32 v41, v49, v41
	v_add_f32_e32 v40, v42, v40
	;; [unrolled: 1-line block ×4, first 2 shown]
	v_mul_f32_e32 v112, 0xbf7e222b, v86
	v_add_f32_e32 v102, v104, v102
	v_fmamk_f32 v107, v83, 0xbf6f5d39, v110
	v_mul_f32_e32 v114, 0x3f62ad3f, v97
	v_add_f32_e32 v42, v65, v43
	v_fmamk_f32 v43, v80, 0x3f116cb1, v52
	v_mul_f32_e32 v49, 0xbf7e222b, v93
	v_add_f32_e32 v41, v51, v41
	v_add_f32_e32 v40, v48, v40
	;; [unrolled: 1-line block ×3, first 2 shown]
	v_fmamk_f32 v100, v78, 0x3df6dbef, v112
	v_mul_f32_e32 v115, 0xbe750f2a, v88
	v_add_f32_e32 v102, v107, v102
	v_fmamk_f32 v106, v85, 0xbeedf032, v114
	v_mul_f32_e32 v116, 0x3f116cb1, v99
	v_add_f32_e32 v42, v43, v42
	v_fmamk_f32 v43, v82, 0x3df6dbef, v49
	v_add_f32_e32 v41, v45, v41
	v_add_f32_e32 v40, v50, v40
	;; [unrolled: 1-line block ×3, first 2 shown]
	v_fmamk_f32 v107, v80, 0xbf788fa5, v115
	v_mul_f32_e32 v117, 0x3f6f5d39, v93
	v_add_f32_e32 v102, v106, v102
	v_fmamk_f32 v106, v89, 0x3f52af12, v116
	v_mul_f32_e32 v118, 0xbf3f9e67, v103
	v_add_f32_e32 v42, v43, v42
	v_add_f32_e32 v41, v47, v41
	;; [unrolled: 1-line block ×4, first 2 shown]
	v_fmamk_f32 v107, v82, 0xbeb58ec6, v117
	v_mul_f32_e32 v119, 0x3eedf032, v95
	v_add_f32_e32 v102, v106, v102
	v_fmamk_f32 v106, v92, 0x3f29c268, v118
	v_mul_f32_e32 v120, 0x3f116cb1, v90
	v_add_f32_e32 v37, v37, v41
	v_add_f32_e32 v41, v46, v43
	;; [unrolled: 1-line block ×3, first 2 shown]
	v_fmamk_f32 v108, v84, 0x3f62ad3f, v119
	v_mul_f32_e32 v121, 0xbf52af12, v98
	v_add_f32_e32 v107, v106, v102
	v_fmamk_f32 v102, v79, 0x3f52af12, v120
	v_mul_f32_e32 v122, 0xbeb58ec6, v94
	v_add_f32_e32 v37, v39, v37
	v_add_f32_e32 v36, v36, v41
	v_fmac_f32_e32 v111, 0xbf7e222b, v79
	v_add_f32_e32 v100, v108, v100
	v_fmamk_f32 v106, v87, 0x3f116cb1, v121
	v_mul_f32_e32 v123, 0xbf29c268, v101
	v_add_f32_e32 v102, v66, v102
	v_fmamk_f32 v108, v81, 0x3f6f5d39, v122
	v_mul_f32_e32 v124, 0xbf788fa5, v96
	v_add_f32_e32 v1, v1, v37
	v_add_f32_e32 v36, v38, v36
	;; [unrolled: 1-line block ×3, first 2 shown]
	v_fmac_f32_e32 v113, 0xbe750f2a, v81
	v_fma_f32 v38, 0x3df6dbef, v78, -v112
	v_add_f32_e32 v100, v106, v100
	v_fmamk_f32 v106, v91, 0xbf3f9e67, v123
	v_mul_f32_e32 v125, 0xbf52af12, v86
	v_add_f32_e32 v102, v108, v102
	v_fmamk_f32 v108, v83, 0x3e750f2a, v124
	v_mul_f32_e32 v126, 0xbf3f9e67, v97
	v_add_f32_e32 v1, v3, v1
	v_add_f32_e32 v0, v0, v36
	;; [unrolled: 1-line block ×3, first 2 shown]
	v_fmac_f32_e32 v110, 0x3f6f5d39, v83
	v_add_f32_e32 v36, v65, v38
	v_fma_f32 v37, 0xbf788fa5, v80, -v115
	v_fmac_f32_e32 v120, 0xbf52af12, v79
	v_add_f32_e32 v106, v106, v100
	v_fmamk_f32 v100, v78, 0x3f116cb1, v125
	v_mul_f32_e32 v127, 0xbf6f5d39, v88
	v_add_f32_e32 v102, v108, v102
	v_fmamk_f32 v108, v85, 0xbf29c268, v126
	v_mul_f32_e32 v128, 0x3df6dbef, v99
	v_mul_f32_e32 v45, 0xbf6f5d39, v95
	v_add_f32_e32 v0, v2, v0
	v_add_f32_e32 v2, v110, v3
	v_fmac_f32_e32 v114, 0x3eedf032, v85
	v_add_f32_e32 v3, v37, v36
	v_fma_f32 v36, 0xbeb58ec6, v82, -v117
	v_add_f32_e32 v37, v66, v120
	v_fmac_f32_e32 v122, 0xbf6f5d39, v81
	v_add_f32_e32 v100, v65, v100
	v_fmamk_f32 v109, v80, 0xbeb58ec6, v127
	v_mul_f32_e32 v129, 0xbe750f2a, v93
	v_add_f32_e32 v102, v108, v102
	v_fmamk_f32 v108, v89, 0xbf7e222b, v128
	v_mul_f32_e32 v130, 0x3f62ad3f, v103
	v_fmamk_f32 v44, v84, 0xbeb58ec6, v45
	v_mul_f32_e32 v47, 0xbf29c268, v98
	v_add_f32_e32 v2, v114, v2
	v_fmac_f32_e32 v116, 0xbf52af12, v89
	v_add_f32_e32 v3, v36, v3
	v_fma_f32 v36, 0x3f62ad3f, v84, -v119
	v_add_f32_e32 v37, v122, v37
	v_fmac_f32_e32 v124, 0xbe750f2a, v83
	v_add_f32_e32 v100, v109, v100
	v_fmamk_f32 v109, v82, 0xbf788fa5, v129
	v_mul_f32_e32 v131, 0x3f29c268, v95
	v_add_f32_e32 v102, v108, v102
	v_fmamk_f32 v108, v92, 0xbeedf032, v130
	v_mul_f32_e32 v90, 0x3f62ad3f, v90
	;; [unrolled: 3-line block ×3, first 2 shown]
	v_add_f32_e32 v2, v116, v2
	v_fmac_f32_e32 v118, 0xbf29c268, v92
	v_add_f32_e32 v36, v36, v3
	v_fma_f32 v38, 0x3f116cb1, v87, -v121
	v_add_f32_e32 v37, v124, v37
	v_fmac_f32_e32 v126, 0x3f29c268, v85
	v_add_f32_e32 v100, v109, v100
	v_fmamk_f32 v132, v84, 0xbf3f9e67, v131
	v_mul_f32_e32 v133, 0x3f7e222b, v98
	v_add_f32_e32 v109, v108, v102
	v_fmamk_f32 v102, v79, 0x3eedf032, v90
	v_mul_f32_e32 v94, 0x3f116cb1, v94
	v_add_f32_e32 v39, v43, v42
	v_fmamk_f32 v41, v91, 0xbf788fa5, v44
	v_add_f32_e32 v3, v118, v2
	v_fma_f32 v2, 0x3f116cb1, v78, -v125
	v_add_f32_e32 v36, v38, v36
	v_fma_f32 v38, 0xbf3f9e67, v91, -v123
	v_add_f32_e32 v37, v126, v37
	v_fmac_f32_e32 v128, 0x3f7e222b, v89
	v_add_f32_e32 v100, v132, v100
	v_fmamk_f32 v108, v87, 0x3df6dbef, v133
	v_mul_f32_e32 v132, 0x3eedf032, v101
	v_add_f32_e32 v102, v66, v102
	v_fmamk_f32 v134, v81, 0x3f52af12, v94
	v_mul_f32_e32 v96, 0x3df6dbef, v96
	v_add_f32_e32 v39, v41, v39
	v_add_f32_e32 v41, v65, v2
	v_fma_f32 v42, 0xbeb58ec6, v80, -v127
	v_add_f32_e32 v2, v38, v36
	v_fmac_f32_e32 v90, 0xbeedf032, v79
	v_add_f32_e32 v36, v128, v37
	v_fma_f32 v37, 0x3f62ad3f, v78, -v53
	v_add_f32_e32 v100, v108, v100
	v_fmamk_f32 v108, v91, 0x3f62ad3f, v132
	v_add_f32_e32 v102, v134, v102
	v_fmamk_f32 v134, v83, 0x3f7e222b, v96
	v_mul_f32_e32 v97, 0xbeb58ec6, v97
	v_add_f32_e32 v38, v42, v41
	v_fma_f32 v41, 0xbf788fa5, v82, -v129
	v_add_f32_e32 v42, v66, v90
	v_fmac_f32_e32 v94, 0xbf52af12, v81
	v_add_f32_e32 v37, v65, v37
	v_fma_f32 v43, 0x3f116cb1, v80, -v52
	v_add_f32_e32 v108, v108, v100
	v_add_f32_e32 v55, v134, v102
	v_fmamk_f32 v100, v85, 0x3f6f5d39, v97
	v_mul_f32_e32 v99, 0xbf3f9e67, v99
	v_add_f32_e32 v38, v41, v38
	v_fma_f32 v41, 0xbf3f9e67, v84, -v131
	v_add_f32_e32 v42, v94, v42
	v_fmac_f32_e32 v96, 0xbf7e222b, v83
	v_add_f32_e32 v37, v43, v37
	v_fma_f32 v43, 0x3df6dbef, v82, -v49
	v_add_f32_e32 v54, v100, v55
	v_fmamk_f32 v55, v89, 0x3f29c268, v99
	v_mul_f32_e32 v48, 0xbf788fa5, v103
	v_add_f32_e32 v38, v41, v38
	v_fma_f32 v41, 0x3df6dbef, v87, -v133
	v_add_f32_e32 v42, v96, v42
	v_fmac_f32_e32 v97, 0xbf6f5d39, v85
	v_add_f32_e32 v37, v43, v37
	v_fma_f32 v43, 0xbeb58ec6, v84, -v45
	v_add_f32_e32 v54, v55, v54
	v_fmamk_f32 v50, v92, 0x3e750f2a, v48
	v_add_f32_e32 v38, v41, v38
	v_add_f32_e32 v41, v97, v42
	v_fmac_f32_e32 v99, 0xbf29c268, v89
	v_add_f32_e32 v37, v43, v37
	v_fma_f32 v42, 0xbf3f9e67, v87, -v47
	v_and_b32_e32 v45, 0xffff, v74
	v_add_f32_e32 v40, v50, v54
	v_fmac_f32_e32 v130, 0x3eedf032, v92
	v_fma_f32 v43, 0x3f62ad3f, v91, -v132
	v_add_f32_e32 v41, v99, v41
	v_fmac_f32_e32 v48, 0xbe750f2a, v92
	v_add_f32_e32 v46, v42, v37
	v_fma_f32 v44, 0xbf788fa5, v91, -v44
	v_lshl_add_u32 v45, v45, 3, v71
	v_add_f32_e32 v37, v130, v36
	v_add_f32_e32 v36, v43, v38
	;; [unrolled: 1-line block ×4, first 2 shown]
	ds_write2_b64 v45, v[0:1], v[39:40] offset1:1
	ds_write2_b64 v45, v[108:109], v[106:107] offset0:2 offset1:3
	ds_write2_b64 v45, v[104:105], v[67:68] offset0:4 offset1:5
	ds_write2_b64 v45, v[60:61], v[62:63] offset0:6 offset1:7
	ds_write2_b64 v45, v[56:57], v[58:59] offset0:8 offset1:9
	ds_write2_b64 v45, v[2:3], v[36:37] offset0:10 offset1:11
	ds_write_b64 v45, v[41:42] offset:96
.LBB0_17:
	s_or_b32 exec_lo, exec_lo, s1
	v_add_nc_u32_e32 v42, 0x400, v72
	s_waitcnt lgkmcnt(0)
	s_barrier
	buffer_gl0_inv
	ds_read2_b64 v[0:3], v72 offset1:117
	ds_read2_b64 v[36:39], v42 offset0:106 offset1:223
	ds_read_b64 v[40:41], v72 offset:3744
	s_and_saveexec_b32 s1, s0
	s_cbranch_execz .LBB0_19
; %bb.18:
	v_add_nc_u32_e32 v43, 0xc00, v72
	ds_read_b64 v[67:68], v72 offset:520
	ds_read2_b64 v[60:63], v42 offset0:54 offset1:171
	ds_read2_b64 v[56:59], v43 offset0:32 offset1:149
.LBB0_19:
	s_or_b32 exec_lo, exec_lo, s1
	s_waitcnt lgkmcnt(1)
	v_mul_f32_e32 v42, v19, v37
	v_mul_f32_e32 v43, v13, v39
	v_mul_f32_e32 v44, v17, v3
	v_mul_f32_e32 v17, v17, v2
	v_mul_f32_e32 v19, v19, v36
	v_fmac_f32_e32 v42, v18, v36
	v_fmac_f32_e32 v43, v12, v38
	s_waitcnt lgkmcnt(0)
	v_mul_f32_e32 v36, v15, v40
	v_fmac_f32_e32 v44, v16, v2
	v_fma_f32 v45, v16, v3, -v17
	v_fma_f32 v18, v18, v37, -v19
	v_add_f32_e32 v2, v42, v43
	v_fma_f32 v19, v14, v41, -v36
	v_mul_f32_e32 v3, v13, v38
	v_mul_f32_e32 v13, v15, v41
	v_add_f32_e32 v15, v0, v44
	v_fma_f32 v2, -0.5, v2, v0
	v_sub_f32_e32 v17, v45, v19
	v_fma_f32 v36, v12, v39, -v3
	v_fmac_f32_e32 v13, v14, v40
	v_add_f32_e32 v3, v15, v42
	v_sub_f32_e32 v14, v44, v42
	v_fmamk_f32 v12, v17, 0xbf737871, v2
	v_sub_f32_e32 v15, v18, v36
	v_sub_f32_e32 v16, v13, v43
	v_fmac_f32_e32 v2, 0x3f737871, v17
	v_add_f32_e32 v37, v44, v13
	v_add_f32_e32 v3, v3, v43
	v_fmac_f32_e32 v12, 0xbf167918, v15
	v_add_f32_e32 v16, v14, v16
	v_fmac_f32_e32 v2, 0x3f167918, v15
	v_fma_f32 v0, -0.5, v37, v0
	v_add_f32_e32 v14, v3, v13
	v_add_f32_e32 v3, v18, v36
	v_fmac_f32_e32 v12, 0x3e9e377a, v16
	v_fmac_f32_e32 v2, 0x3e9e377a, v16
	v_fmamk_f32 v16, v15, 0x3f737871, v0
	v_fmac_f32_e32 v0, 0xbf737871, v15
	v_sub_f32_e32 v37, v42, v44
	v_sub_f32_e32 v38, v43, v13
	v_add_f32_e32 v15, v1, v45
	v_fmac_f32_e32 v16, 0xbf167918, v17
	v_fmac_f32_e32 v0, 0x3f167918, v17
	v_add_f32_e32 v17, v45, v19
	v_fma_f32 v3, -0.5, v3, v1
	v_sub_f32_e32 v39, v44, v13
	v_add_f32_e32 v37, v37, v38
	v_add_f32_e32 v15, v15, v18
	v_sub_f32_e32 v38, v42, v43
	v_fma_f32 v1, -0.5, v17, v1
	v_fmamk_f32 v13, v39, 0x3f737871, v3
	v_fmac_f32_e32 v16, 0x3e9e377a, v37
	v_fmac_f32_e32 v0, 0x3e9e377a, v37
	v_sub_f32_e32 v37, v45, v18
	v_sub_f32_e32 v40, v19, v36
	v_add_f32_e32 v15, v15, v36
	v_fmamk_f32 v17, v38, 0xbf737871, v1
	v_sub_f32_e32 v18, v18, v45
	v_sub_f32_e32 v36, v36, v19
	v_fmac_f32_e32 v1, 0x3f737871, v38
	v_fmac_f32_e32 v3, 0xbf737871, v39
	v_fmac_f32_e32 v13, 0x3f167918, v38
	v_add_f32_e32 v37, v37, v40
	v_fmac_f32_e32 v17, 0x3f167918, v39
	v_add_f32_e32 v18, v18, v36
	v_fmac_f32_e32 v1, 0xbf167918, v39
	v_fmac_f32_e32 v3, 0xbf167918, v38
	v_add_f32_e32 v15, v15, v19
	v_fmac_f32_e32 v13, 0x3e9e377a, v37
	v_fmac_f32_e32 v17, 0x3e9e377a, v18
	;; [unrolled: 1-line block ×4, first 2 shown]
	s_barrier
	buffer_gl0_inv
	ds_write2_b64 v77, v[14:15], v[12:13] offset1:13
	ds_write2_b64 v77, v[16:17], v[0:1] offset0:26 offset1:39
	ds_write_b64 v77, v[2:3] offset:416
	s_and_saveexec_b32 s1, s0
	s_cbranch_execz .LBB0_21
; %bb.20:
	v_mul_f32_e32 v0, v9, v60
	v_mul_f32_e32 v1, v11, v62
	;; [unrolled: 1-line block ×5, first 2 shown]
	v_fma_f32 v12, v8, v61, -v0
	v_fma_f32 v13, v10, v63, -v1
	v_mul_f32_e32 v15, v7, v59
	v_fma_f32 v5, v4, v57, -v3
	v_fmac_f32_e32 v14, v4, v56
	v_fma_f32 v4, v6, v59, -v2
	v_mul_f32_e32 v11, v11, v63
	v_mul_f32_e32 v9, v9, v61
	v_fmac_f32_e32 v15, v6, v58
	v_sub_f32_e32 v6, v12, v13
	v_sub_f32_e32 v7, v4, v5
	v_fmac_f32_e32 v11, v10, v62
	v_fmac_f32_e32 v9, v8, v60
	v_add_f32_e32 v0, v13, v5
	v_sub_f32_e32 v18, v15, v14
	v_add_f32_e32 v36, v7, v6
	v_add_f32_e32 v6, v12, v68
	;; [unrolled: 1-line block ×3, first 2 shown]
	v_sub_f32_e32 v17, v9, v11
	v_fma_f32 v1, -0.5, v0, v68
	v_sub_f32_e32 v16, v11, v14
	v_add_f32_e32 v6, v13, v6
	v_fmac_f32_e32 v68, -0.5, v7
	v_sub_f32_e32 v10, v12, v4
	v_sub_f32_e32 v19, v13, v5
	v_add_f32_e32 v17, v18, v17
	v_add_f32_e32 v18, v67, v9
	v_sub_f32_e32 v12, v13, v12
	v_sub_f32_e32 v13, v5, v4
	v_add_f32_e32 v2, v11, v14
	v_sub_f32_e32 v8, v9, v15
	v_add_f32_e32 v6, v5, v6
	v_fmamk_f32 v5, v16, 0x3f737871, v68
	v_fmac_f32_e32 v68, 0xbf737871, v16
	v_add_f32_e32 v18, v11, v18
	v_add_f32_e32 v12, v13, v12
	;; [unrolled: 1-line block ×3, first 2 shown]
	v_fma_f32 v0, -0.5, v2, v67
	v_fmamk_f32 v3, v8, 0x3f737871, v1
	v_fmac_f32_e32 v5, 0xbf167918, v8
	v_fmac_f32_e32 v68, 0x3f167918, v8
	;; [unrolled: 1-line block ×3, first 2 shown]
	v_mov_b32_e32 v8, 0x41
	v_add_f32_e32 v7, v4, v6
	v_add_f32_e32 v4, v14, v18
	v_fmac_f32_e32 v67, -0.5, v13
	v_fmamk_f32 v2, v10, 0xbf737871, v0
	v_mul_u32_u24_sdwa v8, v76, v8 dst_sel:DWORD dst_unused:UNUSED_PAD src0_sel:WORD_0 src1_sel:DWORD
	v_sub_f32_e32 v9, v11, v9
	v_add_f32_e32 v6, v15, v4
	v_sub_f32_e32 v11, v14, v15
	v_fmamk_f32 v4, v19, 0xbf737871, v67
	v_fmac_f32_e32 v67, 0x3f737871, v19
	v_fmac_f32_e32 v0, 0x3f737871, v10
	v_fmac_f32_e32 v3, 0x3f167918, v16
	v_fmac_f32_e32 v2, 0xbf167918, v19
	v_add_nc_u32_sdwa v8, v8, v75 dst_sel:DWORD dst_unused:UNUSED_PAD src0_sel:DWORD src1_sel:BYTE_0
	v_add_f32_e32 v9, v11, v9
	v_fmac_f32_e32 v4, 0x3f167918, v10
	v_fmac_f32_e32 v67, 0xbf167918, v10
	;; [unrolled: 1-line block ×6, first 2 shown]
	v_lshl_add_u32 v8, v8, 3, v71
	v_fmac_f32_e32 v5, 0x3e9e377a, v12
	v_fmac_f32_e32 v68, 0x3e9e377a, v12
	;; [unrolled: 1-line block ×6, first 2 shown]
	ds_write2_b64 v8, v[6:7], v[2:3] offset1:13
	ds_write2_b64 v8, v[67:68], v[4:5] offset0:26 offset1:39
	ds_write_b64 v8, v[0:1] offset:416
.LBB0_21:
	s_or_b32 exec_lo, exec_lo, s1
	s_waitcnt lgkmcnt(0)
	s_barrier
	buffer_gl0_inv
	ds_read2_b64 v[0:3], v72 offset0:65 offset1:130
	v_add_nc_u32_e32 v4, 0x400, v72
	v_add_nc_u32_e32 v8, 0x800, v72
	;; [unrolled: 1-line block ×3, first 2 shown]
	ds_read2_b64 v[4:7], v4 offset0:67 offset1:132
	ds_read2_b64 v[8:11], v8 offset0:69 offset1:134
	ds_read_b64 v[16:17], v72
	ds_read2_b64 v[12:15], v12 offset0:71 offset1:136
	s_waitcnt lgkmcnt(4)
	v_mul_f32_e32 v18, v33, v1
	v_mul_f32_e32 v19, v33, v0
	;; [unrolled: 1-line block ×4, first 2 shown]
	v_fmac_f32_e32 v18, v32, v0
	v_fma_f32 v0, v32, v1, -v19
	v_fmac_f32_e32 v33, v34, v2
	v_fma_f32 v1, v34, v3, -v35
	s_waitcnt lgkmcnt(3)
	v_mul_f32_e32 v2, v29, v5
	v_mul_f32_e32 v3, v29, v4
	;; [unrolled: 1-line block ×4, first 2 shown]
	s_waitcnt lgkmcnt(2)
	v_mul_f32_e32 v31, v25, v9
	v_fmac_f32_e32 v2, v28, v4
	v_fma_f32 v3, v28, v5, -v3
	s_waitcnt lgkmcnt(0)
	v_mul_f32_e32 v4, v23, v15
	v_mul_f32_e32 v5, v23, v14
	;; [unrolled: 1-line block ×3, first 2 shown]
	v_fma_f32 v28, v30, v7, -v29
	v_fmac_f32_e32 v31, v24, v8
	v_mul_f32_e32 v7, v21, v13
	v_mul_f32_e32 v8, v21, v12
	v_fmac_f32_e32 v4, v22, v14
	v_fma_f32 v5, v22, v15, -v5
	v_mul_f32_e32 v32, v27, v11
	v_fmac_f32_e32 v19, v30, v6
	v_fma_f32 v24, v24, v9, -v25
	;; [unrolled: 3-line block ×3, first 2 shown]
	v_sub_f32_e32 v13, v18, v4
	v_sub_f32_e32 v15, v0, v5
	v_add_f32_e32 v18, v18, v4
	v_fmac_f32_e32 v32, v26, v10
	v_fma_f32 v6, v26, v11, -v6
	v_sub_f32_e32 v21, v1, v8
	v_mul_f32_e32 v10, 0x3f248dbb, v15
	v_add_f32_e32 v0, v0, v5
	v_add_f32_e32 v25, v33, v7
	v_fmamk_f32 v4, v18, 0x3f441b7d, v16
	v_sub_f32_e32 v14, v19, v31
	v_add_f32_e32 v30, v28, v24
	v_sub_f32_e32 v26, v28, v24
	v_add_f32_e32 v29, v19, v31
	v_sub_f32_e32 v20, v33, v7
	v_mul_f32_e32 v9, 0x3f248dbb, v13
	v_sub_f32_e32 v22, v2, v32
	v_sub_f32_e32 v23, v3, v6
	v_fmac_f32_e32 v10, 0x3f7c1c5c, v21
	v_add_f32_e32 v1, v1, v8
	v_add_f32_e32 v2, v2, v32
	v_fmamk_f32 v5, v0, 0x3f441b7d, v17
	v_fmac_f32_e32 v4, 0x3e31d0d4, v25
	v_mul_f32_e32 v12, 0xbf248dbb, v14
	v_fmamk_f32 v8, v30, 0x3f441b7d, v17
	v_add_f32_e32 v27, v3, v6
	v_mul_f32_e32 v11, 0xbf248dbb, v26
	v_fmamk_f32 v6, v29, 0x3f441b7d, v16
	v_fmac_f32_e32 v9, 0x3f7c1c5c, v20
	v_fmac_f32_e32 v10, 0x3f5db3d7, v23
	v_fmac_f32_e32 v5, 0x3e31d0d4, v1
	v_fmac_f32_e32 v4, -0.5, v2
	v_fmac_f32_e32 v12, 0x3f7c1c5c, v13
	v_fmac_f32_e32 v8, 0x3e31d0d4, v0
	v_add_f32_e32 v32, v1, v0
	v_fmac_f32_e32 v11, 0x3f7c1c5c, v15
	v_fmac_f32_e32 v6, 0x3e31d0d4, v18
	;; [unrolled: 1-line block ×4, first 2 shown]
	v_fmac_f32_e32 v5, -0.5, v27
	v_fmac_f32_e32 v4, 0xbf708fb2, v29
	v_fmac_f32_e32 v12, 0xbf5db3d7, v22
	v_fmac_f32_e32 v8, -0.5, v27
	v_add_f32_e32 v34, v27, v32
	v_fmac_f32_e32 v11, 0xbf5db3d7, v23
	v_fmac_f32_e32 v6, -0.5, v2
	v_fmac_f32_e32 v9, 0x3eaf1d44, v14
	v_fmac_f32_e32 v5, 0xbf708fb2, v30
	v_sub_f32_e32 v3, v4, v10
	v_fmac_f32_e32 v12, 0x3eaf1d44, v20
	v_fmac_f32_e32 v8, 0xbf708fb2, v1
	v_add_f32_e32 v28, v28, v34
	v_fmac_f32_e32 v11, 0x3eaf1d44, v21
	v_fmac_f32_e32 v6, 0xbf708fb2, v25
	v_add_f32_e32 v4, v9, v5
	v_fma_f32 v5, 2.0, v10, v3
	v_add_f32_e32 v10, v14, v13
	v_add_f32_e32 v8, v12, v8
	;; [unrolled: 1-line block ×3, first 2 shown]
	v_sub_f32_e32 v7, v6, v11
	v_add_f32_e32 v28, v30, v32
	v_sub_f32_e32 v33, v10, v20
	v_fma_f32 v10, -2.0, v12, v8
	v_add_f32_e32 v12, v27, v17
	v_mul_f32_e32 v32, 0x3f7c1c5c, v14
	v_add_f32_e32 v14, v24, v17
	v_fmac_f32_e32 v17, 0x3f441b7d, v1
	v_fma_f32 v6, -2.0, v9, v4
	v_fma_f32 v9, 2.0, v11, v7
	v_add_f32_e32 v11, v26, v15
	v_mul_f32_e32 v26, 0x3f7c1c5c, v26
	v_fmamk_f32 v24, v25, 0x3f441b7d, v16
	v_add_f32_e32 v35, v25, v18
	v_fma_f32 v1, 0xbf248dbb, v20, -v32
	v_fmac_f32_e32 v17, 0x3e31d0d4, v30
	v_fma_f32 v25, 0xbf248dbb, v21, -v26
	v_fmac_f32_e32 v24, 0x3e31d0d4, v29
	v_add_f32_e32 v20, v2, v35
	v_fmac_f32_e32 v1, 0x3f5db3d7, v22
	v_fmac_f32_e32 v17, -0.5, v27
	v_sub_f32_e32 v36, v11, v21
	v_add_f32_e32 v11, v2, v16
	v_add_f32_e32 v34, v29, v35
	v_fmac_f32_e32 v25, 0x3f5db3d7, v23
	v_fmac_f32_e32 v24, -0.5, v2
	v_fmac_f32_e32 v1, 0x3eaf1d44, v13
	v_add_f32_e32 v2, v19, v20
	v_fmac_f32_e32 v17, 0xbf708fb2, v0
	v_fmac_f32_e32 v11, -0.5, v34
	v_fmac_f32_e32 v12, -0.5, v28
	v_fmac_f32_e32 v25, 0x3eaf1d44, v15
	v_fmac_f32_e32 v24, 0xbf708fb2, v18
	v_add_f32_e32 v0, v31, v2
	v_add_f32_e32 v19, v1, v17
	v_mul_f32_e32 v37, 0x3f5db3d7, v33
	v_mul_f32_e32 v38, 0x3f5db3d7, v36
	v_fmac_f32_e32 v11, 0xbf5db3d7, v36
	v_fmac_f32_e32 v12, 0x3f5db3d7, v33
	v_sub_f32_e32 v18, v24, v25
	v_add_f32_e32 v13, v0, v16
	v_fma_f32 v16, -2.0, v1, v19
	v_add_nc_u32_e32 v0, 0x400, v73
	v_add_nc_u32_e32 v1, 0x800, v73
	;; [unrolled: 1-line block ×3, first 2 shown]
	v_fma_f32 v20, 2.0, v38, v11
	v_fma_f32 v21, -2.0, v37, v12
	v_fma_f32 v15, 2.0, v25, v18
	ds_write_b64 v73, v[13:14]
	ds_write2_b64 v73, v[3:4], v[7:8] offset0:65 offset1:130
	ds_write2_b64 v0, v[11:12], v[18:19] offset0:67 offset1:132
	;; [unrolled: 1-line block ×4, first 2 shown]
	s_waitcnt lgkmcnt(0)
	s_barrier
	buffer_gl0_inv
	s_and_b32 exec_lo, exec_lo, vcc_lo
	s_cbranch_execz .LBB0_23
; %bb.22:
	s_clause 0x5
	global_load_dwordx2 v[27:28], v70, s[14:15]
	global_load_dwordx2 v[29:30], v70, s[14:15] offset:360
	global_load_dwordx2 v[31:32], v70, s[14:15] offset:720
	;; [unrolled: 1-line block ×5, first 2 shown]
	v_add_co_u32 v71, s0, s14, v70
	v_add_co_ci_u32_e64 v72, null, s15, 0, s0
	v_mad_u64_u32 v[5:6], null, s4, v69, 0
	v_add_co_u32 v3, vcc_lo, 0x800, v71
	v_add_co_ci_u32_e32 v4, vcc_lo, 0, v72, vcc_lo
	s_mul_i32 s0, s5, 0x168
	s_clause 0x5
	global_load_dwordx2 v[39:40], v[3:4], off offset:112
	global_load_dwordx2 v[41:42], v[3:4], off offset:472
	;; [unrolled: 1-line block ×6, first 2 shown]
	v_mad_u64_u32 v[3:4], null, s6, v64, 0
	ds_read2_b64 v[11:14], v0 offset0:97 offset1:142
	ds_read_b64 v[55:56], v73
	ds_read2_b64 v[15:18], v1 offset0:59 offset1:104
	ds_read2_b64 v[19:22], v1 offset0:149 offset1:194
	ds_read2_b64 v[23:26], v2 offset0:111 offset1:156
	s_mul_hi_u32 s1, s4, 0x168
	v_mad_u64_u32 v[7:8], null, s7, v64, v[4:5]
	s_mul_i32 s2, s4, 0x168
	s_add_i32 s3, s1, s0
	s_mov_b32 s0, 0x1c01c01c
	s_mov_b32 s1, 0x3f5c01c0
	v_mad_u64_u32 v[8:9], null, s5, v69, v[6:7]
	v_mov_b32_e32 v4, v7
	v_lshlrev_b64 v[3:4], 3, v[3:4]
	v_mov_b32_e32 v6, v8
	ds_read2_b64 v[7:10], v73 offset0:135 offset1:180
	v_lshlrev_b64 v[5:6], 3, v[5:6]
	v_add_co_u32 v3, vcc_lo, s12, v3
	v_add_co_ci_u32_e32 v4, vcc_lo, s13, v4, vcc_lo
	v_add_co_u32 v51, vcc_lo, v3, v5
	v_add_co_ci_u32_e32 v52, vcc_lo, v4, v6, vcc_lo
	ds_read2_b64 v[3:6], v73 offset0:45 offset1:90
	v_add_co_u32 v53, vcc_lo, v51, s2
	v_add_co_ci_u32_e32 v54, vcc_lo, s3, v52, vcc_lo
	v_add_co_u32 v57, vcc_lo, v53, s2
	v_add_co_ci_u32_e32 v58, vcc_lo, s3, v54, vcc_lo
	;; [unrolled: 2-line block ×9, first 2 shown]
	s_waitcnt vmcnt(11) lgkmcnt(5)
	v_mul_f32_e32 v2, v56, v28
	s_waitcnt vmcnt(10) lgkmcnt(0)
	v_mul_f32_e32 v73, v4, v30
	s_waitcnt vmcnt(9)
	v_mul_f32_e32 v74, v6, v32
	v_mul_f32_e32 v28, v55, v28
	;; [unrolled: 1-line block ×3, first 2 shown]
	s_waitcnt vmcnt(6)
	v_mul_f32_e32 v77, v12, v38
	v_mul_f32_e32 v38, v11, v38
	;; [unrolled: 1-line block ×5, first 2 shown]
	v_fmac_f32_e32 v73, v3, v29
	v_fma_f32 v12, v37, v12, -v38
	v_mul_f32_e32 v34, v7, v34
	v_mul_f32_e32 v36, v9, v36
	v_fmac_f32_e32 v74, v5, v31
	v_fmac_f32_e32 v2, v55, v27
	v_fma_f32 v27, v27, v56, -v28
	v_fma_f32 v28, v29, v4, -v30
	;; [unrolled: 1-line block ×3, first 2 shown]
	v_fmac_f32_e32 v75, v7, v33
	v_fmac_f32_e32 v76, v9, v35
	;; [unrolled: 1-line block ×3, first 2 shown]
	v_cvt_f64_f32_e32 v[55:56], v12
	s_waitcnt vmcnt(5)
	v_mul_f32_e32 v12, v14, v40
	v_mul_f32_e32 v40, v13, v40
	v_cvt_f64_f32_e32 v[6:7], v73
	s_waitcnt vmcnt(4)
	v_mul_f32_e32 v73, v16, v42
	v_mul_f32_e32 v42, v15, v42
	v_fma_f32 v31, v33, v8, -v34
	v_fma_f32 v35, v35, v10, -v36
	v_cvt_f64_f32_e32 v[10:11], v74
	s_waitcnt vmcnt(3)
	v_mul_f32_e32 v74, v18, v44
	v_mul_f32_e32 v44, v17, v44
	v_cvt_f64_f32_e32 v[4:5], v27
	v_cvt_f64_f32_e32 v[8:9], v28
	;; [unrolled: 1-line block ×4, first 2 shown]
	s_waitcnt vmcnt(2)
	v_mul_f32_e32 v75, v20, v46
	v_mul_f32_e32 v46, v19, v46
	v_cvt_f64_f32_e32 v[2:3], v2
	v_cvt_f64_f32_e32 v[33:34], v76
	s_waitcnt vmcnt(1)
	v_mul_f32_e32 v76, v22, v48
	v_mul_f32_e32 v48, v21, v48
	v_cvt_f64_f32_e32 v[37:38], v77
	s_waitcnt vmcnt(0)
	v_mul_f32_e32 v77, v24, v50
	v_mul_f32_e32 v50, v23, v50
	v_fmac_f32_e32 v12, v13, v39
	v_fma_f32 v14, v39, v14, -v40
	v_fmac_f32_e32 v73, v15, v41
	v_fma_f32 v39, v41, v16, -v42
	v_cvt_f64_f32_e32 v[31:32], v31
	v_fmac_f32_e32 v74, v17, v43
	v_fma_f32 v40, v43, v18, -v44
	v_cvt_f64_f32_e32 v[35:36], v35
	v_fmac_f32_e32 v75, v19, v45
	v_fma_f32 v41, v45, v20, -v46
	v_fmac_f32_e32 v76, v21, v47
	v_fma_f32 v45, v47, v22, -v48
	;; [unrolled: 2-line block ×3, first 2 shown]
	v_cvt_f64_f32_e32 v[12:13], v12
	v_cvt_f64_f32_e32 v[14:15], v14
	;; [unrolled: 1-line block ×12, first 2 shown]
	v_mul_f64 v[2:3], v[2:3], s[0:1]
	v_mul_f64 v[4:5], v[4:5], s[0:1]
	;; [unrolled: 1-line block ×24, first 2 shown]
	v_cvt_f32_f64_e32 v2, v[2:3]
	v_cvt_f32_f64_e32 v3, v[4:5]
	v_cvt_f32_f64_e32 v4, v[6:7]
	v_cvt_f32_f64_e32 v5, v[8:9]
	v_cvt_f32_f64_e32 v6, v[10:11]
	v_cvt_f32_f64_e32 v7, v[27:28]
	v_cvt_f32_f64_e32 v8, v[29:30]
	v_cvt_f32_f64_e32 v9, v[31:32]
	v_cvt_f32_f64_e32 v10, v[33:34]
	v_cvt_f32_f64_e32 v11, v[35:36]
	v_cvt_f32_f64_e32 v27, v[37:38]
	v_cvt_f32_f64_e32 v28, v[55:56]
	v_cvt_f32_f64_e32 v12, v[12:13]
	v_cvt_f32_f64_e32 v13, v[14:15]
	v_cvt_f32_f64_e32 v14, v[16:17]
	v_cvt_f32_f64_e32 v15, v[18:19]
	v_cvt_f32_f64_e32 v16, v[20:21]
	v_cvt_f32_f64_e32 v17, v[22:23]
	v_cvt_f32_f64_e32 v18, v[39:40]
	v_cvt_f32_f64_e32 v19, v[41:42]
	v_cvt_f32_f64_e32 v20, v[43:44]
	v_cvt_f32_f64_e32 v21, v[45:46]
	v_cvt_f32_f64_e32 v22, v[47:48]
	v_cvt_f32_f64_e32 v23, v[49:50]
	v_add_co_u32 v29, vcc_lo, v69, s2
	v_add_co_ci_u32_e32 v30, vcc_lo, s3, v70, vcc_lo
	v_add_co_u32 v31, vcc_lo, 0x1000, v71
	v_add_co_ci_u32_e32 v32, vcc_lo, 0, v72, vcc_lo
	;; [unrolled: 2-line block ×3, first 2 shown]
	global_store_dwordx2 v[51:52], v[2:3], off
	global_store_dwordx2 v[53:54], v[4:5], off
	;; [unrolled: 1-line block ×12, first 2 shown]
	global_load_dwordx2 v[0:1], v[31:32], off offset:224
	s_waitcnt vmcnt(0)
	v_mul_f32_e32 v2, v26, v1
	v_mul_f32_e32 v1, v25, v1
	v_fmac_f32_e32 v2, v25, v0
	v_fma_f32 v3, v0, v26, -v1
	v_cvt_f64_f32_e32 v[0:1], v2
	v_cvt_f64_f32_e32 v[2:3], v3
	v_mul_f64 v[0:1], v[0:1], s[0:1]
	v_mul_f64 v[2:3], v[2:3], s[0:1]
	v_cvt_f32_f64_e32 v0, v[0:1]
	v_cvt_f32_f64_e32 v1, v[2:3]
	v_add_co_u32 v2, vcc_lo, v33, s2
	v_add_co_ci_u32_e32 v3, vcc_lo, s3, v34, vcc_lo
	global_store_dwordx2 v[2:3], v[0:1], off
.LBB0_23:
	s_endpgm
	.section	.rodata,"a",@progbits
	.p2align	6, 0x0
	.amdhsa_kernel bluestein_single_fwd_len585_dim1_sp_op_CI_CI
		.amdhsa_group_segment_fixed_size 14040
		.amdhsa_private_segment_fixed_size 0
		.amdhsa_kernarg_size 104
		.amdhsa_user_sgpr_count 6
		.amdhsa_user_sgpr_private_segment_buffer 1
		.amdhsa_user_sgpr_dispatch_ptr 0
		.amdhsa_user_sgpr_queue_ptr 0
		.amdhsa_user_sgpr_kernarg_segment_ptr 1
		.amdhsa_user_sgpr_dispatch_id 0
		.amdhsa_user_sgpr_flat_scratch_init 0
		.amdhsa_user_sgpr_private_segment_size 0
		.amdhsa_wavefront_size32 1
		.amdhsa_uses_dynamic_stack 0
		.amdhsa_system_sgpr_private_segment_wavefront_offset 0
		.amdhsa_system_sgpr_workgroup_id_x 1
		.amdhsa_system_sgpr_workgroup_id_y 0
		.amdhsa_system_sgpr_workgroup_id_z 0
		.amdhsa_system_sgpr_workgroup_info 0
		.amdhsa_system_vgpr_workitem_id 0
		.amdhsa_next_free_vgpr 135
		.amdhsa_next_free_sgpr 16
		.amdhsa_reserve_vcc 1
		.amdhsa_reserve_flat_scratch 0
		.amdhsa_float_round_mode_32 0
		.amdhsa_float_round_mode_16_64 0
		.amdhsa_float_denorm_mode_32 3
		.amdhsa_float_denorm_mode_16_64 3
		.amdhsa_dx10_clamp 1
		.amdhsa_ieee_mode 1
		.amdhsa_fp16_overflow 0
		.amdhsa_workgroup_processor_mode 1
		.amdhsa_memory_ordered 1
		.amdhsa_forward_progress 0
		.amdhsa_shared_vgpr_count 0
		.amdhsa_exception_fp_ieee_invalid_op 0
		.amdhsa_exception_fp_denorm_src 0
		.amdhsa_exception_fp_ieee_div_zero 0
		.amdhsa_exception_fp_ieee_overflow 0
		.amdhsa_exception_fp_ieee_underflow 0
		.amdhsa_exception_fp_ieee_inexact 0
		.amdhsa_exception_int_div_zero 0
	.end_amdhsa_kernel
	.text
.Lfunc_end0:
	.size	bluestein_single_fwd_len585_dim1_sp_op_CI_CI, .Lfunc_end0-bluestein_single_fwd_len585_dim1_sp_op_CI_CI
                                        ; -- End function
	.section	.AMDGPU.csdata,"",@progbits
; Kernel info:
; codeLenInByte = 13464
; NumSgprs: 18
; NumVgprs: 135
; ScratchSize: 0
; MemoryBound: 0
; FloatMode: 240
; IeeeMode: 1
; LDSByteSize: 14040 bytes/workgroup (compile time only)
; SGPRBlocks: 2
; VGPRBlocks: 16
; NumSGPRsForWavesPerEU: 18
; NumVGPRsForWavesPerEU: 135
; Occupancy: 7
; WaveLimiterHint : 1
; COMPUTE_PGM_RSRC2:SCRATCH_EN: 0
; COMPUTE_PGM_RSRC2:USER_SGPR: 6
; COMPUTE_PGM_RSRC2:TRAP_HANDLER: 0
; COMPUTE_PGM_RSRC2:TGID_X_EN: 1
; COMPUTE_PGM_RSRC2:TGID_Y_EN: 0
; COMPUTE_PGM_RSRC2:TGID_Z_EN: 0
; COMPUTE_PGM_RSRC2:TIDIG_COMP_CNT: 0
	.text
	.p2alignl 6, 3214868480
	.fill 48, 4, 3214868480
	.type	__hip_cuid_37c31dc68ecc237e,@object ; @__hip_cuid_37c31dc68ecc237e
	.section	.bss,"aw",@nobits
	.globl	__hip_cuid_37c31dc68ecc237e
__hip_cuid_37c31dc68ecc237e:
	.byte	0                               ; 0x0
	.size	__hip_cuid_37c31dc68ecc237e, 1

	.ident	"AMD clang version 19.0.0git (https://github.com/RadeonOpenCompute/llvm-project roc-6.4.0 25133 c7fe45cf4b819c5991fe208aaa96edf142730f1d)"
	.section	".note.GNU-stack","",@progbits
	.addrsig
	.addrsig_sym __hip_cuid_37c31dc68ecc237e
	.amdgpu_metadata
---
amdhsa.kernels:
  - .args:
      - .actual_access:  read_only
        .address_space:  global
        .offset:         0
        .size:           8
        .value_kind:     global_buffer
      - .actual_access:  read_only
        .address_space:  global
        .offset:         8
        .size:           8
        .value_kind:     global_buffer
      - .actual_access:  read_only
        .address_space:  global
        .offset:         16
        .size:           8
        .value_kind:     global_buffer
      - .actual_access:  read_only
        .address_space:  global
        .offset:         24
        .size:           8
        .value_kind:     global_buffer
      - .actual_access:  read_only
        .address_space:  global
        .offset:         32
        .size:           8
        .value_kind:     global_buffer
      - .offset:         40
        .size:           8
        .value_kind:     by_value
      - .address_space:  global
        .offset:         48
        .size:           8
        .value_kind:     global_buffer
      - .address_space:  global
        .offset:         56
        .size:           8
        .value_kind:     global_buffer
      - .address_space:  global
        .offset:         64
        .size:           8
        .value_kind:     global_buffer
      - .address_space:  global
        .offset:         72
        .size:           8
        .value_kind:     global_buffer
      - .offset:         80
        .size:           4
        .value_kind:     by_value
      - .address_space:  global
        .offset:         88
        .size:           8
        .value_kind:     global_buffer
      - .address_space:  global
        .offset:         96
        .size:           8
        .value_kind:     global_buffer
    .group_segment_fixed_size: 14040
    .kernarg_segment_align: 8
    .kernarg_segment_size: 104
    .language:       OpenCL C
    .language_version:
      - 2
      - 0
    .max_flat_workgroup_size: 195
    .name:           bluestein_single_fwd_len585_dim1_sp_op_CI_CI
    .private_segment_fixed_size: 0
    .sgpr_count:     18
    .sgpr_spill_count: 0
    .symbol:         bluestein_single_fwd_len585_dim1_sp_op_CI_CI.kd
    .uniform_work_group_size: 1
    .uses_dynamic_stack: false
    .vgpr_count:     135
    .vgpr_spill_count: 0
    .wavefront_size: 32
    .workgroup_processor_mode: 1
amdhsa.target:   amdgcn-amd-amdhsa--gfx1030
amdhsa.version:
  - 1
  - 2
...

	.end_amdgpu_metadata
